;; amdgpu-corpus repo=ROCm/rocFFT kind=compiled arch=gfx1100 opt=O3
	.text
	.amdgcn_target "amdgcn-amd-amdhsa--gfx1100"
	.amdhsa_code_object_version 6
	.protected	fft_rtc_fwd_len936_factors_2_2_13_2_3_3_wgs_234_tpt_78_halfLds_dp_ip_CI_unitstride_sbrr_R2C_dirReg ; -- Begin function fft_rtc_fwd_len936_factors_2_2_13_2_3_3_wgs_234_tpt_78_halfLds_dp_ip_CI_unitstride_sbrr_R2C_dirReg
	.globl	fft_rtc_fwd_len936_factors_2_2_13_2_3_3_wgs_234_tpt_78_halfLds_dp_ip_CI_unitstride_sbrr_R2C_dirReg
	.p2align	8
	.type	fft_rtc_fwd_len936_factors_2_2_13_2_3_3_wgs_234_tpt_78_halfLds_dp_ip_CI_unitstride_sbrr_R2C_dirReg,@function
fft_rtc_fwd_len936_factors_2_2_13_2_3_3_wgs_234_tpt_78_halfLds_dp_ip_CI_unitstride_sbrr_R2C_dirReg: ; @fft_rtc_fwd_len936_factors_2_2_13_2_3_3_wgs_234_tpt_78_halfLds_dp_ip_CI_unitstride_sbrr_R2C_dirReg
; %bb.0:
	s_load_b128 s[4:7], s[0:1], 0x0
	v_mul_u32_u24_e32 v1, 0x349, v0
	s_clause 0x1
	s_load_b64 s[8:9], s[0:1], 0x50
	s_load_b64 s[10:11], s[0:1], 0x18
	v_mov_b32_e32 v3, 0
	v_lshrrev_b32_e32 v4, 16, v1
	s_delay_alu instid0(VALU_DEP_1) | instskip(SKIP_3) | instid1(VALU_DEP_1)
	v_mad_u64_u32 v[1:2], null, s15, 3, v[4:5]
	v_mov_b32_e32 v5, 0
	v_mov_b32_e32 v6, 0
	;; [unrolled: 1-line block ×4, first 2 shown]
	s_waitcnt lgkmcnt(0)
	v_cmp_lt_u64_e64 s2, s[6:7], 2
	v_mov_b32_e32 v9, v1
	s_delay_alu instid0(VALU_DEP_2)
	s_and_b32 vcc_lo, exec_lo, s2
	s_cbranch_vccnz .LBB0_8
; %bb.1:
	s_load_b64 s[2:3], s[0:1], 0x10
	v_dual_mov_b32 v5, 0 :: v_dual_mov_b32 v8, v2
	s_add_u32 s12, s10, 8
	v_dual_mov_b32 v6, 0 :: v_dual_mov_b32 v7, v1
	s_addc_u32 s13, s11, 0
	s_mov_b64 s[16:17], 1
	s_waitcnt lgkmcnt(0)
	s_add_u32 s14, s2, 8
	s_addc_u32 s15, s3, 0
.LBB0_2:                                ; =>This Inner Loop Header: Depth=1
	s_load_b64 s[18:19], s[14:15], 0x0
                                        ; implicit-def: $vgpr9_vgpr10
	s_mov_b32 s2, exec_lo
	s_waitcnt lgkmcnt(0)
	v_or_b32_e32 v4, s19, v8
	s_delay_alu instid0(VALU_DEP_1)
	v_cmpx_ne_u64_e32 0, v[3:4]
	s_xor_b32 s3, exec_lo, s2
	s_cbranch_execz .LBB0_4
; %bb.3:                                ;   in Loop: Header=BB0_2 Depth=1
	v_cvt_f32_u32_e32 v2, s18
	v_cvt_f32_u32_e32 v4, s19
	s_sub_u32 s2, 0, s18
	s_subb_u32 s20, 0, s19
	s_delay_alu instid0(VALU_DEP_1) | instskip(NEXT) | instid1(VALU_DEP_1)
	v_fmac_f32_e32 v2, 0x4f800000, v4
	v_rcp_f32_e32 v2, v2
	s_waitcnt_depctr 0xfff
	v_mul_f32_e32 v2, 0x5f7ffffc, v2
	s_delay_alu instid0(VALU_DEP_1) | instskip(NEXT) | instid1(VALU_DEP_1)
	v_mul_f32_e32 v4, 0x2f800000, v2
	v_trunc_f32_e32 v4, v4
	s_delay_alu instid0(VALU_DEP_1) | instskip(SKIP_1) | instid1(VALU_DEP_2)
	v_fmac_f32_e32 v2, 0xcf800000, v4
	v_cvt_u32_f32_e32 v4, v4
	v_cvt_u32_f32_e32 v2, v2
	s_delay_alu instid0(VALU_DEP_2) | instskip(NEXT) | instid1(VALU_DEP_2)
	v_mul_lo_u32 v9, s2, v4
	v_mul_hi_u32 v10, s2, v2
	v_mul_lo_u32 v11, s20, v2
	s_delay_alu instid0(VALU_DEP_2) | instskip(SKIP_1) | instid1(VALU_DEP_2)
	v_add_nc_u32_e32 v9, v10, v9
	v_mul_lo_u32 v10, s2, v2
	v_add_nc_u32_e32 v9, v9, v11
	s_delay_alu instid0(VALU_DEP_2) | instskip(NEXT) | instid1(VALU_DEP_2)
	v_mul_hi_u32 v11, v2, v10
	v_mul_lo_u32 v12, v2, v9
	v_mul_hi_u32 v13, v2, v9
	v_mul_hi_u32 v14, v4, v10
	v_mul_lo_u32 v10, v4, v10
	v_mul_hi_u32 v15, v4, v9
	v_mul_lo_u32 v9, v4, v9
	v_add_co_u32 v11, vcc_lo, v11, v12
	v_add_co_ci_u32_e32 v12, vcc_lo, 0, v13, vcc_lo
	s_delay_alu instid0(VALU_DEP_2) | instskip(NEXT) | instid1(VALU_DEP_2)
	v_add_co_u32 v10, vcc_lo, v11, v10
	v_add_co_ci_u32_e32 v10, vcc_lo, v12, v14, vcc_lo
	v_add_co_ci_u32_e32 v11, vcc_lo, 0, v15, vcc_lo
	s_delay_alu instid0(VALU_DEP_2) | instskip(NEXT) | instid1(VALU_DEP_2)
	v_add_co_u32 v9, vcc_lo, v10, v9
	v_add_co_ci_u32_e32 v10, vcc_lo, 0, v11, vcc_lo
	s_delay_alu instid0(VALU_DEP_2) | instskip(NEXT) | instid1(VALU_DEP_2)
	v_add_co_u32 v2, vcc_lo, v2, v9
	v_add_co_ci_u32_e32 v4, vcc_lo, v4, v10, vcc_lo
	s_delay_alu instid0(VALU_DEP_2) | instskip(SKIP_1) | instid1(VALU_DEP_3)
	v_mul_hi_u32 v9, s2, v2
	v_mul_lo_u32 v11, s20, v2
	v_mul_lo_u32 v10, s2, v4
	s_delay_alu instid0(VALU_DEP_1) | instskip(SKIP_1) | instid1(VALU_DEP_2)
	v_add_nc_u32_e32 v9, v9, v10
	v_mul_lo_u32 v10, s2, v2
	v_add_nc_u32_e32 v9, v9, v11
	s_delay_alu instid0(VALU_DEP_2) | instskip(NEXT) | instid1(VALU_DEP_2)
	v_mul_hi_u32 v11, v2, v10
	v_mul_lo_u32 v12, v2, v9
	v_mul_hi_u32 v13, v2, v9
	v_mul_hi_u32 v14, v4, v10
	v_mul_lo_u32 v10, v4, v10
	v_mul_hi_u32 v15, v4, v9
	v_mul_lo_u32 v9, v4, v9
	v_add_co_u32 v11, vcc_lo, v11, v12
	v_add_co_ci_u32_e32 v12, vcc_lo, 0, v13, vcc_lo
	s_delay_alu instid0(VALU_DEP_2) | instskip(NEXT) | instid1(VALU_DEP_2)
	v_add_co_u32 v10, vcc_lo, v11, v10
	v_add_co_ci_u32_e32 v10, vcc_lo, v12, v14, vcc_lo
	v_add_co_ci_u32_e32 v11, vcc_lo, 0, v15, vcc_lo
	s_delay_alu instid0(VALU_DEP_2) | instskip(NEXT) | instid1(VALU_DEP_2)
	v_add_co_u32 v9, vcc_lo, v10, v9
	v_add_co_ci_u32_e32 v10, vcc_lo, 0, v11, vcc_lo
	s_delay_alu instid0(VALU_DEP_2) | instskip(NEXT) | instid1(VALU_DEP_2)
	v_add_co_u32 v2, vcc_lo, v2, v9
	v_add_co_ci_u32_e32 v4, vcc_lo, v4, v10, vcc_lo
	s_delay_alu instid0(VALU_DEP_2) | instskip(SKIP_1) | instid1(VALU_DEP_3)
	v_mul_hi_u32 v15, v7, v2
	v_mad_u64_u32 v[11:12], null, v8, v2, 0
	v_mad_u64_u32 v[9:10], null, v7, v4, 0
	;; [unrolled: 1-line block ×3, first 2 shown]
	s_delay_alu instid0(VALU_DEP_2) | instskip(NEXT) | instid1(VALU_DEP_3)
	v_add_co_u32 v2, vcc_lo, v15, v9
	v_add_co_ci_u32_e32 v4, vcc_lo, 0, v10, vcc_lo
	s_delay_alu instid0(VALU_DEP_2) | instskip(NEXT) | instid1(VALU_DEP_2)
	v_add_co_u32 v2, vcc_lo, v2, v11
	v_add_co_ci_u32_e32 v2, vcc_lo, v4, v12, vcc_lo
	v_add_co_ci_u32_e32 v4, vcc_lo, 0, v14, vcc_lo
	s_delay_alu instid0(VALU_DEP_2) | instskip(NEXT) | instid1(VALU_DEP_2)
	v_add_co_u32 v2, vcc_lo, v2, v13
	v_add_co_ci_u32_e32 v4, vcc_lo, 0, v4, vcc_lo
	s_delay_alu instid0(VALU_DEP_2) | instskip(SKIP_1) | instid1(VALU_DEP_3)
	v_mul_lo_u32 v11, s19, v2
	v_mad_u64_u32 v[9:10], null, s18, v2, 0
	v_mul_lo_u32 v12, s18, v4
	s_delay_alu instid0(VALU_DEP_2) | instskip(NEXT) | instid1(VALU_DEP_2)
	v_sub_co_u32 v9, vcc_lo, v7, v9
	v_add3_u32 v10, v10, v12, v11
	s_delay_alu instid0(VALU_DEP_1) | instskip(NEXT) | instid1(VALU_DEP_1)
	v_sub_nc_u32_e32 v11, v8, v10
	v_subrev_co_ci_u32_e64 v11, s2, s19, v11, vcc_lo
	v_add_co_u32 v12, s2, v2, 2
	s_delay_alu instid0(VALU_DEP_1) | instskip(SKIP_3) | instid1(VALU_DEP_3)
	v_add_co_ci_u32_e64 v13, s2, 0, v4, s2
	v_sub_co_u32 v14, s2, v9, s18
	v_sub_co_ci_u32_e32 v10, vcc_lo, v8, v10, vcc_lo
	v_subrev_co_ci_u32_e64 v11, s2, 0, v11, s2
	v_cmp_le_u32_e32 vcc_lo, s18, v14
	s_delay_alu instid0(VALU_DEP_3) | instskip(SKIP_1) | instid1(VALU_DEP_4)
	v_cmp_eq_u32_e64 s2, s19, v10
	v_cndmask_b32_e64 v14, 0, -1, vcc_lo
	v_cmp_le_u32_e32 vcc_lo, s19, v11
	v_cndmask_b32_e64 v15, 0, -1, vcc_lo
	v_cmp_le_u32_e32 vcc_lo, s18, v9
	;; [unrolled: 2-line block ×3, first 2 shown]
	v_cndmask_b32_e64 v16, 0, -1, vcc_lo
	v_cmp_eq_u32_e32 vcc_lo, s19, v11
	s_delay_alu instid0(VALU_DEP_2) | instskip(SKIP_3) | instid1(VALU_DEP_3)
	v_cndmask_b32_e64 v9, v16, v9, s2
	v_cndmask_b32_e32 v11, v15, v14, vcc_lo
	v_add_co_u32 v14, vcc_lo, v2, 1
	v_add_co_ci_u32_e32 v15, vcc_lo, 0, v4, vcc_lo
	v_cmp_ne_u32_e32 vcc_lo, 0, v11
	s_delay_alu instid0(VALU_DEP_2) | instskip(SKIP_1) | instid1(VALU_DEP_2)
	v_dual_cndmask_b32 v10, v15, v13 :: v_dual_cndmask_b32 v11, v14, v12
	v_cmp_ne_u32_e32 vcc_lo, 0, v9
	v_dual_cndmask_b32 v10, v4, v10 :: v_dual_cndmask_b32 v9, v2, v11
.LBB0_4:                                ;   in Loop: Header=BB0_2 Depth=1
	s_and_not1_saveexec_b32 s2, s3
	s_cbranch_execz .LBB0_6
; %bb.5:                                ;   in Loop: Header=BB0_2 Depth=1
	v_cvt_f32_u32_e32 v2, s18
	s_sub_i32 s3, 0, s18
	s_delay_alu instid0(VALU_DEP_1) | instskip(SKIP_2) | instid1(VALU_DEP_1)
	v_rcp_iflag_f32_e32 v2, v2
	s_waitcnt_depctr 0xfff
	v_mul_f32_e32 v2, 0x4f7ffffe, v2
	v_cvt_u32_f32_e32 v2, v2
	s_delay_alu instid0(VALU_DEP_1) | instskip(NEXT) | instid1(VALU_DEP_1)
	v_mul_lo_u32 v4, s3, v2
	v_mul_hi_u32 v4, v2, v4
	s_delay_alu instid0(VALU_DEP_1) | instskip(NEXT) | instid1(VALU_DEP_1)
	v_add_nc_u32_e32 v2, v2, v4
	v_mul_hi_u32 v2, v7, v2
	s_delay_alu instid0(VALU_DEP_1) | instskip(SKIP_1) | instid1(VALU_DEP_2)
	v_mul_lo_u32 v4, v2, s18
	v_add_nc_u32_e32 v9, 1, v2
	v_sub_nc_u32_e32 v4, v7, v4
	s_delay_alu instid0(VALU_DEP_1) | instskip(SKIP_1) | instid1(VALU_DEP_2)
	v_subrev_nc_u32_e32 v10, s18, v4
	v_cmp_le_u32_e32 vcc_lo, s18, v4
	v_cndmask_b32_e32 v4, v4, v10, vcc_lo
	v_mov_b32_e32 v10, v3
	v_cndmask_b32_e32 v2, v2, v9, vcc_lo
	s_delay_alu instid0(VALU_DEP_3) | instskip(NEXT) | instid1(VALU_DEP_2)
	v_cmp_le_u32_e32 vcc_lo, s18, v4
	v_add_nc_u32_e32 v9, 1, v2
	s_delay_alu instid0(VALU_DEP_1)
	v_cndmask_b32_e32 v9, v2, v9, vcc_lo
.LBB0_6:                                ;   in Loop: Header=BB0_2 Depth=1
	s_or_b32 exec_lo, exec_lo, s2
	s_load_b64 s[2:3], s[12:13], 0x0
	v_mul_lo_u32 v2, v10, s18
	s_delay_alu instid0(VALU_DEP_2)
	v_mul_lo_u32 v4, v9, s19
	v_mad_u64_u32 v[11:12], null, v9, s18, 0
	s_add_u32 s16, s16, 1
	s_addc_u32 s17, s17, 0
	s_add_u32 s12, s12, 8
	s_addc_u32 s13, s13, 0
	;; [unrolled: 2-line block ×3, first 2 shown]
	s_delay_alu instid0(VALU_DEP_1) | instskip(SKIP_1) | instid1(VALU_DEP_2)
	v_add3_u32 v2, v12, v4, v2
	v_sub_co_u32 v4, vcc_lo, v7, v11
	v_sub_co_ci_u32_e32 v2, vcc_lo, v8, v2, vcc_lo
	s_waitcnt lgkmcnt(0)
	s_delay_alu instid0(VALU_DEP_2) | instskip(NEXT) | instid1(VALU_DEP_2)
	v_mul_lo_u32 v11, s3, v4
	v_mul_lo_u32 v2, s2, v2
	v_mad_u64_u32 v[7:8], null, s2, v4, v[5:6]
	v_cmp_ge_u64_e64 s2, s[16:17], s[6:7]
	s_delay_alu instid0(VALU_DEP_1) | instskip(NEXT) | instid1(VALU_DEP_2)
	s_and_b32 vcc_lo, exec_lo, s2
	v_add3_u32 v6, v11, v8, v2
	s_delay_alu instid0(VALU_DEP_3)
	v_mov_b32_e32 v5, v7
	s_cbranch_vccnz .LBB0_8
; %bb.7:                                ;   in Loop: Header=BB0_2 Depth=1
	v_dual_mov_b32 v7, v9 :: v_dual_mov_b32 v8, v10
	s_branch .LBB0_2
.LBB0_8:
	s_lshl_b64 s[2:3], s[6:7], 3
	v_mul_hi_u32 v2, 0xaaaaaaab, v1
	s_add_u32 s2, s10, s2
	s_addc_u32 s3, s11, s3
	v_mul_hi_u32 v3, 0x3483484, v0
	s_load_b64 s[2:3], s[2:3], 0x0
	s_load_b64 s[0:1], s[0:1], 0x20
	s_delay_alu instid0(VALU_DEP_2) | instskip(NEXT) | instid1(VALU_DEP_2)
	v_lshrrev_b32_e32 v2, 1, v2
	v_mul_u32_u24_e32 v3, 0x4e, v3
	s_delay_alu instid0(VALU_DEP_2) | instskip(NEXT) | instid1(VALU_DEP_2)
	v_lshl_add_u32 v4, v2, 1, v2
	v_sub_nc_u32_e32 v100, v0, v3
	s_delay_alu instid0(VALU_DEP_2) | instskip(NEXT) | instid1(VALU_DEP_2)
	v_sub_nc_u32_e32 v0, v1, v4
	v_add_nc_u32_e32 v102, 0x4e, v100
	v_add_nc_u32_e32 v112, 0x9c, v100
	;; [unrolled: 1-line block ×3, first 2 shown]
	s_waitcnt lgkmcnt(0)
	v_mul_lo_u32 v7, s2, v10
	v_mul_lo_u32 v8, s3, v9
	v_mad_u64_u32 v[2:3], null, s2, v9, v[5:6]
	v_cmp_gt_u64_e32 vcc_lo, s[0:1], v[9:10]
	v_cmp_le_u64_e64 s0, s[0:1], v[9:10]
	v_add_nc_u32_e32 v108, 0x138, v100
	v_add_nc_u32_e32 v106, 0x186, v100
	v_add3_u32 v3, v8, v3, v7
	s_delay_alu instid0(VALU_DEP_4) | instskip(NEXT) | instid1(SALU_CYCLE_1)
	s_and_saveexec_b32 s1, s0
	s_xor_b32 s0, exec_lo, s1
; %bb.9:
	v_add_nc_u32_e32 v102, 0x4e, v100
	v_add_nc_u32_e32 v112, 0x9c, v100
	;; [unrolled: 1-line block ×5, first 2 shown]
; %bb.10:
	s_or_saveexec_b32 s1, s0
	v_mul_u32_u24_e32 v0, 0x3a9, v0
	v_lshlrev_b64 v[114:115], 4, v[2:3]
	v_lshlrev_b32_e32 v105, 4, v100
	s_delay_alu instid0(VALU_DEP_3)
	v_lshlrev_b32_e32 v107, 4, v0
	s_xor_b32 exec_lo, exec_lo, s1
	s_cbranch_execz .LBB0_12
; %bb.11:
	v_mov_b32_e32 v101, 0
	v_add_co_u32 v2, s0, s8, v114
	s_delay_alu instid0(VALU_DEP_1) | instskip(NEXT) | instid1(VALU_DEP_3)
	v_add_co_ci_u32_e64 v3, s0, s9, v115, s0
	v_lshlrev_b64 v[0:1], 4, v[100:101]
	v_add3_u32 v48, 0, v107, v105
	s_delay_alu instid0(VALU_DEP_2) | instskip(NEXT) | instid1(VALU_DEP_1)
	v_add_co_u32 v24, s0, v2, v0
	v_add_co_ci_u32_e64 v25, s0, v3, v1, s0
	s_delay_alu instid0(VALU_DEP_2) | instskip(NEXT) | instid1(VALU_DEP_1)
	v_add_co_u32 v26, s0, 0x1000, v24
	v_add_co_ci_u32_e64 v27, s0, 0, v25, s0
	v_add_co_u32 v36, s0, 0x2000, v24
	s_delay_alu instid0(VALU_DEP_1) | instskip(SKIP_1) | instid1(VALU_DEP_1)
	v_add_co_ci_u32_e64 v37, s0, 0, v25, s0
	v_add_co_u32 v44, s0, 0x3000, v24
	v_add_co_ci_u32_e64 v45, s0, 0, v25, s0
	s_clause 0xb
	global_load_b128 v[0:3], v[24:25], off
	global_load_b128 v[4:7], v[24:25], off offset:1248
	global_load_b128 v[8:11], v[24:25], off offset:2496
	;; [unrolled: 1-line block ×11, first 2 shown]
	s_waitcnt vmcnt(11)
	ds_store_b128 v48, v[0:3]
	s_waitcnt vmcnt(10)
	ds_store_b128 v48, v[4:7] offset:1248
	s_waitcnt vmcnt(9)
	ds_store_b128 v48, v[8:11] offset:2496
	s_waitcnt vmcnt(8)
	ds_store_b128 v48, v[12:15] offset:3744
	s_waitcnt vmcnt(7)
	ds_store_b128 v48, v[16:19] offset:4992
	s_waitcnt vmcnt(6)
	ds_store_b128 v48, v[20:23] offset:6240
	s_waitcnt vmcnt(5)
	ds_store_b128 v48, v[24:27] offset:7488
	s_waitcnt vmcnt(4)
	ds_store_b128 v48, v[28:31] offset:8736
	s_waitcnt vmcnt(3)
	ds_store_b128 v48, v[32:35] offset:9984
	s_waitcnt vmcnt(2)
	ds_store_b128 v48, v[36:39] offset:11232
	s_waitcnt vmcnt(1)
	ds_store_b128 v48, v[40:43] offset:12480
	s_waitcnt vmcnt(0)
	ds_store_b128 v48, v[44:47] offset:13728
.LBB0_12:
	s_or_b32 exec_lo, exec_lo, s1
	s_delay_alu instid0(VALU_DEP_1)
	v_add_nc_u32_e32 v121, 0, v107
	v_add3_u32 v101, 0, v105, v107
	s_waitcnt lgkmcnt(0)
	s_barrier
	buffer_gl0_inv
	v_add_nc_u32_e32 v117, v121, v105
	v_and_b32_e32 v56, 1, v100
	v_add_nc_u32_e32 v48, v101, v105
	v_lshl_add_u32 v50, v102, 5, v121
	v_lshl_add_u32 v51, v112, 5, v121
	ds_load_b128 v[0:3], v117
	ds_load_b128 v[4:7], v101 offset:7488
	ds_load_b128 v[8:11], v101 offset:8736
	;; [unrolled: 1-line block ×11, first 2 shown]
	v_lshlrev_b32_e32 v49, 4, v56
	v_lshl_add_u32 v52, v110, 5, v121
	v_lshl_add_u32 v53, v108, 5, v121
	;; [unrolled: 1-line block ×3, first 2 shown]
	s_waitcnt lgkmcnt(0)
	s_barrier
	buffer_gl0_inv
	v_lshlrev_b32_e32 v55, 4, v102
	v_lshlrev_b32_e32 v118, 1, v100
	v_add_f64 v[4:5], v[0:1], -v[4:5]
	v_add_f64 v[6:7], v[2:3], -v[6:7]
	;; [unrolled: 1-line block ×12, first 2 shown]
	v_sub_nc_u32_e32 v113, v50, v55
	v_lshlrev_b32_e32 v91, 1, v102
	v_lshlrev_b32_e32 v89, 1, v112
	;; [unrolled: 1-line block ×3, first 2 shown]
	v_cmp_gt_u32_e64 s0, 0x48, v100
	v_fma_f64 v[0:1], v[0:1], 2.0, -v[4:5]
	v_fma_f64 v[2:3], v[2:3], 2.0, -v[6:7]
	;; [unrolled: 1-line block ×12, first 2 shown]
	ds_store_b128 v48, v[0:3]
	ds_store_b128 v48, v[4:7] offset:16
	ds_store_b128 v50, v[12:15]
	ds_store_b128 v50, v[8:11] offset:16
	;; [unrolled: 2-line block ×6, first 2 shown]
	s_waitcnt lgkmcnt(0)
	s_barrier
	buffer_gl0_inv
	global_load_b128 v[0:3], v49, s[4:5]
	ds_load_b128 v[4:7], v101 offset:7488
	ds_load_b128 v[8:11], v101 offset:8736
	;; [unrolled: 1-line block ×6, first 2 shown]
	s_waitcnt vmcnt(0) lgkmcnt(5)
	v_mul_f64 v[28:29], v[6:7], v[2:3]
	v_mul_f64 v[30:31], v[4:5], v[2:3]
	s_waitcnt lgkmcnt(4)
	v_mul_f64 v[32:33], v[10:11], v[2:3]
	v_mul_f64 v[34:35], v[8:9], v[2:3]
	s_waitcnt lgkmcnt(3)
	;; [unrolled: 3-line block ×5, first 2 shown]
	v_mul_f64 v[48:49], v[26:27], v[2:3]
	v_mul_f64 v[2:3], v[24:25], v[2:3]
	v_fma_f64 v[4:5], v[4:5], v[0:1], -v[28:29]
	v_fma_f64 v[6:7], v[6:7], v[0:1], v[30:31]
	v_fma_f64 v[8:9], v[8:9], v[0:1], -v[32:33]
	v_fma_f64 v[10:11], v[10:11], v[0:1], v[34:35]
	v_fma_f64 v[28:29], v[12:13], v[0:1], -v[36:37]
	v_fma_f64 v[30:31], v[14:15], v[0:1], v[38:39]
	v_fma_f64 v[32:33], v[16:17], v[0:1], -v[40:41]
	v_fma_f64 v[34:35], v[18:19], v[0:1], v[42:43]
	v_fma_f64 v[36:37], v[20:21], v[0:1], -v[44:45]
	v_fma_f64 v[38:39], v[22:23], v[0:1], v[46:47]
	v_fma_f64 v[40:41], v[24:25], v[0:1], -v[48:49]
	v_fma_f64 v[42:43], v[26:27], v[0:1], v[2:3]
	v_lshlrev_b32_e32 v12, 4, v112
	v_lshlrev_b32_e32 v13, 4, v110
	;; [unrolled: 1-line block ×4, first 2 shown]
	ds_load_b128 v[0:3], v117
	v_sub_nc_u32_e32 v111, v51, v12
	v_sub_nc_u32_e32 v109, v52, v13
	;; [unrolled: 1-line block ×4, first 2 shown]
	ds_load_b128 v[12:15], v113
	ds_load_b128 v[16:19], v111
	;; [unrolled: 1-line block ×5, first 2 shown]
	s_waitcnt lgkmcnt(0)
	s_barrier
	buffer_gl0_inv
	v_add_f64 v[20:21], v[0:1], -v[4:5]
	v_add_f64 v[22:23], v[2:3], -v[6:7]
	;; [unrolled: 1-line block ×12, first 2 shown]
	v_fma_f64 v[0:1], v[0:1], 2.0, -v[20:21]
	v_fma_f64 v[2:3], v[2:3], 2.0, -v[22:23]
	;; [unrolled: 1-line block ×12, first 2 shown]
	v_lshlrev_b32_e32 v48, 1, v108
	v_lshlrev_b32_e32 v49, 1, v106
	v_and_or_b32 v50, 0xfc, v118, v56
	v_and_or_b32 v51, 0x1fc, v91, v56
	;; [unrolled: 1-line block ×6, first 2 shown]
	v_lshl_add_u32 v50, v50, 4, v121
	v_lshl_add_u32 v51, v51, 4, v121
	;; [unrolled: 1-line block ×6, first 2 shown]
	ds_store_b128 v50, v[0:3]
	ds_store_b128 v50, v[20:23] offset:32
	ds_store_b128 v51, v[28:31]
	ds_store_b128 v51, v[24:27] offset:32
	;; [unrolled: 2-line block ×6, first 2 shown]
	s_waitcnt lgkmcnt(0)
	s_barrier
	buffer_gl0_inv
                                        ; implicit-def: $vgpr50_vgpr51
	s_and_saveexec_b32 s1, s0
	s_cbranch_execz .LBB0_14
; %bb.13:
	ds_load_b128 v[0:3], v117
	ds_load_b128 v[20:23], v101 offset:1152
	ds_load_b128 v[28:31], v101 offset:2304
	;; [unrolled: 1-line block ×12, first 2 shown]
.LBB0_14:
	s_or_b32 exec_lo, exec_lo, s1
	s_waitcnt lgkmcnt(0)
	s_barrier
	buffer_gl0_inv
	s_and_saveexec_b32 s33, s0
	s_cbranch_execz .LBB0_16
; %bb.15:
	v_and_b32_e32 v52, 3, v100
	v_mov_b32_e32 v120, v87
	s_mov_b32 s0, 0xebaa3ed8
	s_mov_b32 s2, 0x66966769
	s_mov_b32 s6, 0xb2365da1
	v_mul_u32_u24_e32 v52, 12, v52
	s_mov_b32 s10, 0x2ef20147
	s_mov_b32 s16, 0x1ea71119
	;; [unrolled: 1-line block ×4, first 2 shown]
	v_lshlrev_b32_e32 v56, 4, v52
	s_mov_b32 s18, 0xe00740e9
	s_mov_b32 s24, 0x42a4c3d2
	s_mov_b32 s22, 0x24c2f84
	s_mov_b32 s20, 0x4267c47c
	s_clause 0xb
	global_load_b128 v[72:75], v56, s[4:5] offset:32
	global_load_b128 v[68:71], v56, s[4:5] offset:208
	;; [unrolled: 1-line block ×12, first 2 shown]
	s_mov_b32 s26, 0x4bc48dbf
	s_mov_b32 s1, 0x3fbedb7d
	;; [unrolled: 1-line block ×25, first 2 shown]
	scratch_store_b64 off, v[114:115], off  ; 8-byte Folded Spill
	v_mov_b32_e32 v119, v117
	v_mov_b32_e32 v117, v113
	s_waitcnt vmcnt(9)
	v_mul_f64 v[129:130], v[28:29], v[86:87]
	s_waitcnt vmcnt(8)
	v_mul_f64 v[131:132], v[40:41], v[90:91]
	s_waitcnt vmcnt(7)
	v_mul_f64 v[133:134], v[24:25], v[82:83]
	s_waitcnt vmcnt(6)
	v_mul_f64 v[135:136], v[44:45], v[94:95]
	s_waitcnt vmcnt(5)
	v_mul_f64 v[137:138], v[32:33], v[78:79]
	s_waitcnt vmcnt(4)
	v_mul_f64 v[139:140], v[36:37], v[98:99]
	v_mul_f64 v[86:87], v[30:31], v[86:87]
	v_mul_f64 v[125:126], v[20:21], v[74:75]
	;; [unrolled: 1-line block ×7, first 2 shown]
	s_waitcnt vmcnt(0)
	v_mul_f64 v[147:148], v[8:9], v[58:59]
	v_mul_f64 v[58:59], v[10:11], v[58:59]
	;; [unrolled: 1-line block ×11, first 2 shown]
	v_fma_f64 v[54:55], v[30:31], v[84:85], v[129:130]
	v_fma_f64 v[129:130], v[46:47], v[92:93], v[135:136]
	;; [unrolled: 1-line block ×5, first 2 shown]
	v_fma_f64 v[72:73], v[20:21], v[72:73], -v[74:75]
	v_fma_f64 v[122:123], v[50:51], v[68:69], v[127:128]
	v_fma_f64 v[127:128], v[42:43], v[88:89], v[131:132]
	v_fma_f64 v[74:75], v[48:49], v[68:69], -v[70:71]
	v_fma_f64 v[48:49], v[28:29], v[84:85], -v[86:87]
	v_fma_f64 v[40:41], v[40:41], v[88:89], -v[90:91]
	v_fma_f64 v[38:39], v[24:25], v[80:81], -v[82:83]
	v_fma_f64 v[22:23], v[10:11], v[56:57], v[147:148]
	v_fma_f64 v[24:25], v[8:9], v[56:57], -v[58:59]
	v_fma_f64 v[50:51], v[26:27], v[80:81], v[133:134]
	v_fma_f64 v[42:43], v[44:45], v[92:93], -v[94:95]
	v_fma_f64 v[30:31], v[36:37], v[96:97], -v[98:99]
	v_fma_f64 v[20:21], v[14:15], v[60:61], v[141:142]
	v_fma_f64 v[36:37], v[6:7], v[64:65], v[143:144]
	;; [unrolled: 1-line block ×3, first 2 shown]
	v_fma_f64 v[14:15], v[12:13], v[60:61], -v[62:63]
	v_fma_f64 v[18:19], v[4:5], v[64:65], -v[66:67]
	;; [unrolled: 1-line block ×4, first 2 shown]
	scratch_store_b64 off, v[129:130], off offset:40 ; 8-byte Folded Spill
	v_add_f64 v[70:71], v[46:47], v[34:35]
	v_add_f64 v[80:81], v[46:47], -v[34:35]
	v_add_f64 v[56:57], v[2:3], v[125:126]
	v_add_f64 v[58:59], v[0:1], v[72:73]
	;; [unrolled: 1-line block ×3, first 2 shown]
	v_add_f64 v[60:61], v[125:126], -v[122:123]
	v_add_f64 v[62:63], v[54:55], v[127:128]
	v_add_f64 v[64:65], v[54:55], -v[127:128]
	scratch_store_b64 off, v[40:41], off offset:32 ; 8-byte Folded Spill
	v_add_f64 v[44:45], v[48:49], -v[40:41]
	v_add_f64 v[40:41], v[48:49], v[40:41]
	v_dual_mov_b32 v4, v74 :: v_dual_mov_b32 v5, v75
	scratch_store_b64 off, v[122:123], off offset:8 ; 8-byte Folded Spill
	v_add_f64 v[66:67], v[50:51], v[129:130]
	v_add_f64 v[68:69], v[50:51], -v[129:130]
	v_add_f64 v[76:77], v[38:39], -v[42:43]
	v_add_f64 v[16:17], v[38:39], v[42:43]
	v_dual_mov_b32 v122, v111 :: v_dual_mov_b32 v111, v109
	v_mov_b32_e32 v109, v103
	s_clause 0x1
	scratch_store_b64 off, v[127:128], off offset:24
	scratch_store_b64 off, v[4:5], off offset:16
	v_add_f64 v[74:75], v[72:73], -v[4:5]
	v_add_f64 v[72:73], v[72:73], v[4:5]
	v_add_f64 v[78:79], v[32:33], -v[30:31]
	v_add_f64 v[82:83], v[32:33], v[30:31]
	v_add_f64 v[84:85], v[36:37], v[28:29]
	v_add_f64 v[86:87], v[36:37], -v[28:29]
	v_add_f64 v[92:93], v[18:19], -v[26:27]
	v_add_f64 v[94:95], v[18:19], v[26:27]
	v_mov_b32_e32 v103, v105
	v_add_f64 v[88:89], v[20:21], v[22:23]
	v_add_f64 v[90:91], v[20:21], -v[22:23]
	v_add_f64 v[96:97], v[14:15], -v[24:25]
	v_add_f64 v[98:99], v[14:15], v[24:25]
	v_mul_f64 v[149:150], v[70:71], s[16:17]
	v_mul_f64 v[159:160], v[70:71], s[12:13]
	v_add_f64 v[54:55], v[56:57], v[54:55]
	v_add_f64 v[48:49], v[58:59], v[48:49]
	v_mul_f64 v[125:126], v[52:53], s[12:13]
	v_mul_f64 v[127:128], v[52:53], s[14:15]
	;; [unrolled: 1-line block ×36, first 2 shown]
	v_add_f64 v[50:51], v[54:55], v[50:51]
	v_add_f64 v[38:39], v[48:49], v[38:39]
	v_fma_f64 v[207:208], v[74:75], s[26:27], v[125:126]
	v_fma_f64 v[125:126], v[74:75], s[30:31], v[125:126]
	v_fma_f64 v[209:210], v[74:75], s[22:23], v[127:128]
	v_fma_f64 v[127:128], v[74:75], s[34:35], v[127:128]
	v_fma_f64 v[211:212], v[74:75], s[10:11], v[56:57]
	v_fma_f64 v[56:57], v[74:75], s[40:41], v[56:57]
	v_fma_f64 v[213:214], v[74:75], s[36:37], v[129:130]
	v_fma_f64 v[129:130], v[74:75], s[2:3], v[129:130]
	v_fma_f64 v[215:216], v[74:75], s[38:39], v[131:132]
	v_fma_f64 v[131:132], v[74:75], s[24:25], v[131:132]
	v_fma_f64 v[217:218], v[74:75], s[28:29], v[52:53]
	v_fma_f64 v[52:53], v[74:75], s[20:21], v[52:53]
	v_fma_f64 v[74:75], v[72:73], s[12:13], v[58:59]
	v_fma_f64 v[58:59], v[72:73], s[12:13], -v[58:59]
	v_fma_f64 v[219:220], v[72:73], s[14:15], v[133:134]
	v_fma_f64 v[133:134], v[72:73], s[14:15], -v[133:134]
	v_fma_f64 v[221:222], v[72:73], s[6:7], v[135:136]
	;; [unrolled: 2-line block ×4, first 2 shown]
	v_mul_f64 v[54:55], v[68:69], s[28:29]
	v_mul_f64 v[185:186], v[68:69], s[10:11]
	;; [unrolled: 1-line block ×4, first 2 shown]
	v_fma_f64 v[227:228], v[76:77], s[22:23], v[145:146]
	v_fma_f64 v[229:230], v[78:79], s[24:25], v[149:150]
	;; [unrolled: 1-line block ×9, first 2 shown]
	v_fma_f64 v[153:154], v[40:41], s[0:1], -v[153:154]
	v_fma_f64 v[155:156], v[76:77], s[24:25], v[155:156]
	v_add_f64 v[46:47], v[50:51], v[46:47]
	v_fma_f64 v[50:51], v[72:73], s[16:17], -v[139:140]
	v_fma_f64 v[139:140], v[72:73], s[18:19], v[60:61]
	v_fma_f64 v[60:61], v[72:73], s[18:19], -v[60:61]
	v_add_f64 v[32:33], v[38:39], v[32:33]
	v_fma_f64 v[72:73], v[44:45], s[20:21], v[141:142]
	v_fma_f64 v[38:39], v[40:41], s[18:19], v[143:144]
	;; [unrolled: 1-line block ×3, first 2 shown]
	v_fma_f64 v[143:144], v[40:41], s[18:19], -v[143:144]
	v_fma_f64 v[159:160], v[78:79], s[26:27], v[159:160]
	v_fma_f64 v[239:240], v[78:79], s[36:37], v[161:162]
	;; [unrolled: 1-line block ×20, first 2 shown]
	v_fma_f64 v[181:182], v[40:41], s[12:13], -v[181:182]
	v_fma_f64 v[123:124], v[40:41], s[6:7], v[183:184]
	v_fma_f64 v[183:184], v[40:41], s[6:7], -v[183:184]
	v_fma_f64 v[4:5], v[40:41], s[16:17], v[64:65]
	v_add_f64 v[207:208], v[2:3], v[207:208]
	v_add_f64 v[74:75], v[0:1], v[74:75]
	;; [unrolled: 1-line block ×6, first 2 shown]
	v_fma_f64 v[46:47], v[44:45], s[22:23], v[173:174]
	v_fma_f64 v[173:174], v[44:45], s[26:27], v[175:176]
	;; [unrolled: 1-line block ×3, first 2 shown]
	v_add_f64 v[18:19], v[32:33], v[18:19]
	v_fma_f64 v[32:33], v[44:45], s[40:41], v[177:178]
	v_fma_f64 v[177:178], v[44:45], s[38:39], v[62:63]
	;; [unrolled: 1-line block ×4, first 2 shown]
	v_fma_f64 v[179:180], v[40:41], s[14:15], -v[179:180]
	v_fma_f64 v[40:41], v[40:41], s[16:17], -v[64:65]
	v_add_f64 v[219:220], v[0:1], v[219:220]
	v_add_f64 v[127:128], v[2:3], v[127:128]
	;; [unrolled: 1-line block ×19, first 2 shown]
	v_mul_f64 v[48:49], v[80:81], s[38:39]
	v_mul_f64 v[189:190], v[80:81], s[26:27]
	;; [unrolled: 1-line block ×6, first 2 shown]
	v_fma_f64 v[64:65], v[16:17], s[14:15], v[147:148]
	v_fma_f64 v[147:148], v[16:17], s[14:15], -v[147:148]
	v_fma_f64 v[6:7], v[16:17], s[16:17], v[157:158]
	v_fma_f64 v[157:158], v[16:17], s[16:17], -v[157:158]
	;; [unrolled: 2-line block ×6, first 2 shown]
	v_add_f64 v[20:21], v[36:37], v[20:21]
	v_add_f64 v[14:15], v[18:19], v[14:15]
	;; [unrolled: 1-line block ×6, first 2 shown]
	v_mul_f64 v[199:200], v[86:87], s[40:41]
	v_mul_f64 v[205:206], v[84:85], s[18:19]
	;; [unrolled: 1-line block ×3, first 2 shown]
	v_add_f64 v[76:77], v[76:77], v[211:212]
	v_mul_f64 v[211:212], v[86:87], s[36:37]
	v_add_f64 v[135:136], v[179:180], v[135:136]
	v_mul_f64 v[233:234], v[84:85], s[12:13]
	v_add_f64 v[62:63], v[62:63], v[221:222]
	v_add_f64 v[46:47], v[46:47], v[56:57]
	;; [unrolled: 1-line block ×7, first 2 shown]
	v_fma_f64 v[68:69], v[82:83], s[16:17], v[48:49]
	v_fma_f64 v[48:49], v[82:83], s[16:17], -v[48:49]
	v_fma_f64 v[12:13], v[82:83], s[12:13], v[189:190]
	v_fma_f64 v[189:190], v[82:83], s[12:13], -v[189:190]
	;; [unrolled: 2-line block ×6, first 2 shown]
	v_mul_f64 v[82:83], v[86:87], s[28:29]
	v_add_f64 v[50:51], v[183:184], v[50:51]
	v_add_f64 v[137:138], v[181:182], v[137:138]
	v_mul_f64 v[197:198], v[84:85], s[6:7]
	v_add_f64 v[72:73], v[72:73], v[207:208]
	v_mul_f64 v[207:208], v[88:89], s[6:7]
	v_add_f64 v[20:21], v[20:21], v[22:23]
	v_add_f64 v[14:15], v[14:15], v[24:25]
	v_mul_f64 v[24:25], v[86:87], s[26:27]
	v_mul_f64 v[86:87], v[86:87], s[34:35]
	v_add_f64 v[38:39], v[64:65], v[38:39]
	v_add_f64 v[6:7], v[6:7], v[219:220]
	;; [unrolled: 1-line block ×4, first 2 shown]
	v_mul_f64 v[74:75], v[90:91], s[40:41]
	v_add_f64 v[76:77], v[78:79], v[76:77]
	v_add_f64 v[125:126], v[141:142], v[125:126]
	;; [unrolled: 1-line block ×3, first 2 shown]
	v_fma_f64 v[139:140], v[92:93], s[30:31], v[233:234]
	v_mul_f64 v[141:142], v[88:89], s[16:17]
	v_mul_f64 v[151:152], v[84:85], s[16:17]
	;; [unrolled: 1-line block ×4, first 2 shown]
	v_add_f64 v[173:174], v[173:174], v[213:214]
	v_add_f64 v[2:3], v[66:67], v[2:3]
	;; [unrolled: 1-line block ×9, first 2 shown]
	v_mul_f64 v[201:202], v[88:89], s[0:1]
	v_add_f64 v[58:59], v[143:144], v[58:59]
	v_mul_f64 v[143:144], v[88:89], s[14:15]
	v_add_f64 v[209:210], v[231:232], v[209:210]
	v_mul_f64 v[231:232], v[88:89], s[18:19]
	v_mul_f64 v[88:89], v[88:89], s[12:13]
	;; [unrolled: 1-line block ×3, first 2 shown]
	v_add_f64 v[50:51], v[187:188], v[50:51]
	v_add_f64 v[113:114], v[185:186], v[137:138]
	v_mul_f64 v[56:57], v[90:91], s[34:35]
	v_fma_f64 v[213:214], v[92:93], s[10:11], v[197:198]
	v_fma_f64 v[197:198], v[92:93], s[40:41], v[197:198]
	v_add_f64 v[20:21], v[20:21], v[28:29]
	v_add_f64 v[14:15], v[14:15], v[26:27]
	v_fma_f64 v[26:27], v[92:93], s[28:29], v[205:206]
	v_fma_f64 v[28:29], v[94:95], s[18:19], -v[82:83]
	v_fma_f64 v[135:136], v[94:95], s[14:15], v[86:87]
	v_fma_f64 v[86:87], v[94:95], s[14:15], -v[86:87]
	v_add_f64 v[38:39], v[68:69], v[38:39]
	v_add_f64 v[6:7], v[12:13], v[6:7]
	v_add_f64 v[12:13], v[159:160], v[127:128]
	v_add_f64 v[68:69], v[189:190], v[133:134]
	v_add_f64 v[76:77], v[239:240], v[76:77]
	v_fma_f64 v[183:184], v[92:93], s[20:21], v[205:206]
	v_fma_f64 v[181:182], v[94:95], s[18:19], v[82:83]
	;; [unrolled: 1-line block ×3, first 2 shown]
	v_add_f64 v[123:124], v[123:124], v[225:226]
	v_fma_f64 v[225:226], v[98:99], s[6:7], v[74:75]
	v_fma_f64 v[40:41], v[96:97], s[40:41], v[207:208]
	v_fma_f64 v[44:45], v[98:99], s[6:7], -v[74:75]
	v_add_f64 v[2:3], v[70:71], v[2:3]
	v_add_f64 v[0:1], v[80:81], v[0:1]
	scratch_load_b64 v[70:71], off, off offset:40 ; 8-byte Folded Reload
	v_fma_f64 v[74:75], v[96:97], s[24:25], v[141:142]
	v_fma_f64 v[82:83], v[96:97], s[38:39], v[141:142]
	;; [unrolled: 1-line block ×7, first 2 shown]
	v_add_f64 v[78:79], v[169:170], v[129:130]
	v_add_f64 v[129:130], v[247:248], v[173:174]
	;; [unrolled: 1-line block ×4, first 2 shown]
	v_fma_f64 v[10:11], v[92:93], s[22:23], v[84:85]
	v_fma_f64 v[66:67], v[94:95], s[16:17], -v[153:154]
	v_add_f64 v[36:37], v[36:37], v[62:63]
	v_add_f64 v[46:47], v[161:162], v[46:47]
	;; [unrolled: 1-line block ×6, first 2 shown]
	v_fma_f64 v[20:21], v[92:93], s[34:35], v[84:85]
	v_fma_f64 v[30:31], v[94:95], s[12:13], v[24:25]
	v_fma_f64 v[24:25], v[94:95], s[12:13], -v[24:25]
	v_fma_f64 v[34:35], v[94:95], s[16:17], v[153:154]
	v_fma_f64 v[92:93], v[94:95], s[0:1], -v[211:212]
	v_add_f64 v[60:61], v[193:194], v[113:114]
	v_add_f64 v[12:13], v[26:27], v[12:13]
	;; [unrolled: 1-line block ×6, first 2 shown]
	v_fma_f64 v[80:81], v[96:97], s[26:27], v[88:89]
	v_fma_f64 v[88:89], v[96:97], s[30:31], v[88:89]
	v_fma_f64 v[113:114], v[98:99], s[16:17], -v[221:222]
	v_add_f64 v[177:178], v[177:178], v[217:218]
	v_add_f64 v[64:65], v[145:146], v[125:126]
	;; [unrolled: 1-line block ×4, first 2 shown]
	scratch_load_b64 v[0:1], off, off offset:24 ; 8-byte Folded Reload
	v_add_f64 v[72:73], v[227:228], v[72:73]
	v_add_f64 v[125:126], v[235:236], v[209:210]
	;; [unrolled: 1-line block ×3, first 2 shown]
	v_mul_f64 v[179:180], v[90:91], s[28:29]
	v_mul_f64 v[203:204], v[90:91], s[36:37]
	v_fma_f64 v[223:224], v[94:95], s[6:7], v[199:200]
	v_fma_f64 v[199:200], v[94:95], s[6:7], -v[199:200]
	v_add_f64 v[62:63], v[163:164], v[78:79]
	v_add_f64 v[78:79], v[241:242], v[129:130]
	;; [unrolled: 1-line block ×3, first 2 shown]
	v_fma_f64 v[115:116], v[98:99], s[14:15], v[56:57]
	v_fma_f64 v[56:57], v[98:99], s[14:15], -v[56:57]
	v_mul_f64 v[90:91], v[90:91], s[30:31]
	v_fma_f64 v[84:85], v[94:95], s[0:1], v[211:212]
	v_add_f64 v[4:5], v[195:196], v[4:5]
	v_add_f64 v[22:23], v[22:23], v[32:33]
	v_fma_f64 v[175:176], v[96:97], s[2:3], v[201:202]
	v_fma_f64 v[201:202], v[96:97], s[36:37], v[201:202]
	v_add_f64 v[14:15], v[14:15], v[42:43]
	v_add_f64 v[20:21], v[20:21], v[2:3]
	;; [unrolled: 1-line block ×4, first 2 shown]
	v_fma_f64 v[94:95], v[96:97], s[22:23], v[143:144]
	v_add_f64 v[32:33], v[92:93], v[50:51]
	v_add_f64 v[50:51], v[66:67], v[60:61]
	v_fma_f64 v[137:138], v[96:97], s[34:35], v[143:144]
	v_fma_f64 v[42:43], v[96:97], s[20:21], v[231:232]
	v_mov_b32_e32 v87, v120
	v_add_f64 v[24:25], v[24:25], v[54:55]
	v_add_f64 v[60:61], v[34:35], v[18:19]
	;; [unrolled: 1-line block ×9, first 2 shown]
	v_fma_f64 v[125:126], v[98:99], s[18:19], -v[179:180]
	v_fma_f64 v[131:132], v[98:99], s[0:1], v[203:204]
	v_fma_f64 v[203:204], v[98:99], s[0:1], -v[203:204]
	v_add_f64 v[38:39], v[223:224], v[38:39]
	v_add_f64 v[46:47], v[151:152], v[62:63]
	;; [unrolled: 1-line block ×4, first 2 shown]
	v_mov_b32_e32 v105, v103
	v_mov_b32_e32 v103, v109
	v_fma_f64 v[127:128], v[98:99], s[12:13], v[90:91]
	v_fma_f64 v[90:91], v[98:99], s[12:13], -v[90:91]
	v_mov_b32_e32 v109, v111
	v_mov_b32_e32 v111, v122
	v_add_f64 v[28:29], v[56:57], v[50:51]
	v_add_f64 v[50:51], v[88:89], v[20:21]
	v_lshlrev_b32_e32 v89, 1, v112
	scratch_load_b64 v[20:21], off, off offset:8 ; 8-byte Folded Reload
	v_add_f64 v[24:25], v[113:114], v[24:25]
	v_add_f64 v[52:53], v[245:246], v[123:124]
	v_add_f64 v[64:65], v[197:198], v[64:65]
	v_add_f64 v[48:49], v[199:200], v[48:49]
	v_fma_f64 v[123:124], v[98:99], s[18:19], v[179:180]
	v_add_f64 v[72:73], v[213:214], v[72:73]
	v_add_f64 v[58:59], v[183:184], v[58:59]
	;; [unrolled: 1-line block ×9, first 2 shown]
	v_lshlrev_b32_e32 v91, 1, v102
	v_add_f64 v[2:3], v[175:176], v[72:73]
	v_add_f64 v[10:11], v[253:254], v[58:59]
	s_waitcnt vmcnt(2)
	v_add_f64 v[16:17], v[16:17], v[70:71]
	v_fma_f64 v[70:71], v[96:97], s[28:29], v[231:232]
	v_fma_f64 v[96:97], v[98:99], s[16:17], v[221:222]
	v_add_f64 v[98:99], v[181:182], v[6:7]
	v_add_f64 v[6:7], v[201:202], v[64:65]
	s_waitcnt vmcnt(1)
	v_add_f64 v[76:77], v[16:17], v[0:1]
	scratch_load_b64 v[0:1], off, off offset:32 ; 8-byte Folded Reload
	v_add_f64 v[34:35], v[70:71], v[22:23]
	v_add_f64 v[16:17], v[96:97], v[30:31]
	;; [unrolled: 1-line block ×5, first 2 shown]
	v_lshrrev_b32_e32 v52, 2, v100
	v_and_b32_e32 v53, 3, v100
	s_delay_alu instid0(VALU_DEP_2) | instskip(NEXT) | instid1(VALU_DEP_1)
	v_mul_u32_u24_e32 v52, 52, v52
	v_or_b32_e32 v52, v52, v53
	s_delay_alu instid0(VALU_DEP_1) | instskip(SKIP_1) | instid1(VALU_DEP_2)
	v_dual_mov_b32 v113, v117 :: v_dual_lshlrev_b32 v52, 4, v52
	v_mov_b32_e32 v117, v119
	v_add3_u32 v52, 0, v52, v107
	s_waitcnt vmcnt(1)
	v_add_f64 v[22:23], v[76:77], v[20:21]
	scratch_load_b64 v[20:21], off, off offset:16 ; 8-byte Folded Reload
	s_waitcnt vmcnt(1)
	v_add_f64 v[78:79], v[14:15], v[0:1]
	v_add_f64 v[14:15], v[40:41], v[12:13]
	;; [unrolled: 1-line block ×5, first 2 shown]
	scratch_load_b64 v[114:115], off, off   ; 8-byte Folded Reload
	v_add_f64 v[0:1], v[131:132], v[38:39]
	v_add_f64 v[38:39], v[94:95], v[54:55]
	;; [unrolled: 1-line block ×4, first 2 shown]
	s_waitcnt vmcnt(1)
	v_add_f64 v[20:21], v[78:79], v[20:21]
	ds_store_b128 v52, v[32:35] offset:128
	ds_store_b128 v52, v[28:31] offset:192
	;; [unrolled: 1-line block ×11, first 2 shown]
	ds_store_b128 v52, v[20:23]
	ds_store_b128 v52, v[44:47] offset:768
.LBB0_16:
	s_or_b32 exec_lo, exec_lo, s33
	v_subrev_nc_u32_e32 v0, 52, v100
	v_cmp_gt_u32_e64 s0, 52, v100
	v_dual_mov_b32 v2, 0 :: v_dual_and_b32 v5, 0xff, v112
	v_and_b32_e32 v6, 0xffff, v110
	v_and_b32_e32 v7, 0xffff, v106
	s_delay_alu instid0(VALU_DEP_4) | instskip(NEXT) | instid1(VALU_DEP_4)
	v_cndmask_b32_e64 v1, v0, v100, s0
	v_mov_b32_e32 v90, v2
	v_dual_mov_b32 v119, v2 :: v_dual_and_b32 v0, 0xff, v102
	v_mul_lo_u16 v73, 0x4f, v5
	v_dual_mov_b32 v92, v2 :: v_dual_and_b32 v5, 0xffff, v108
	s_delay_alu instid0(VALU_DEP_3) | instskip(SKIP_1) | instid1(VALU_DEP_4)
	v_mul_lo_u16 v0, 0x4f, v0
	v_mul_u32_u24_e32 v74, 0x4ec5, v6
	v_lshrrev_b16 v75, 12, v73
	s_delay_alu instid0(VALU_DEP_4)
	v_mul_u32_u24_e32 v5, 0x4ec5, v5
	v_mul_u32_u24_e32 v6, 0x4ec5, v7
	v_lshrrev_b16 v0, 12, v0
	v_lshrrev_b32_e32 v76, 20, v74
	v_mul_lo_u16 v8, v75, 52
	v_lshrrev_b32_e32 v77, 20, v5
	v_lshrrev_b32_e32 v78, 20, v6
	v_mul_lo_u16 v7, v0, 52
	v_lshlrev_b64 v[3:4], 4, v[1:2]
	v_mul_lo_u16 v6, v76, 52
	s_waitcnt vmcnt(0) lgkmcnt(0)
	s_waitcnt_vscnt null, 0x0
	v_mul_lo_u16 v9, v78, 52
	v_sub_nc_u16 v5, v102, v7
	v_sub_nc_u16 v7, v112, v8
	v_mul_lo_u16 v8, v77, 52
	v_sub_nc_u16 v6, v110, v6
	v_add_co_u32 v3, s0, s4, v3
	v_dual_mov_b32 v88, v2 :: v_dual_and_b32 v5, 0xff, v5
	v_and_b32_e32 v7, 0xff, v7
	v_sub_nc_u16 v8, v108, v8
	v_add_co_ci_u32_e64 v4, s0, s5, v4, s0
	v_sub_nc_u16 v9, v106, v9
	v_lshlrev_b32_e32 v79, 4, v5
	v_and_b32_e32 v10, 0xffff, v6
	v_lshlrev_b32_e32 v80, 4, v7
	v_and_b32_e32 v11, 0xffff, v8
	s_barrier
	buffer_gl0_inv
	v_and_b32_e32 v15, 0xffff, v9
	global_load_b128 v[3:6], v[3:4], off offset:800
	v_lshlrev_b32_e32 v81, 4, v10
	global_load_b128 v[7:10], v79, s[4:5] offset:800
	v_lshlrev_b32_e32 v82, 4, v11
	global_load_b128 v[11:14], v80, s[4:5] offset:800
	v_lshlrev_b32_e32 v83, 4, v15
	s_clause 0x2
	global_load_b128 v[15:18], v81, s[4:5] offset:800
	global_load_b128 v[19:22], v82, s[4:5] offset:800
	;; [unrolled: 1-line block ×3, first 2 shown]
	ds_load_b128 v[27:30], v101 offset:7488
	ds_load_b128 v[31:34], v101 offset:8736
	;; [unrolled: 1-line block ×6, first 2 shown]
	v_cmp_lt_u32_e64 s0, 51, v100
	s_mov_b32 s2, 0xe8584caa
	s_mov_b32 s3, 0x3febb67a
	;; [unrolled: 1-line block ×4, first 2 shown]
	s_add_u32 s1, s4, 0x3a60
	s_waitcnt vmcnt(5) lgkmcnt(5)
	v_mul_f64 v[51:52], v[29:30], v[5:6]
	v_mul_f64 v[5:6], v[27:28], v[5:6]
	s_waitcnt vmcnt(4) lgkmcnt(4)
	v_mul_f64 v[53:54], v[33:34], v[9:10]
	v_mul_f64 v[9:10], v[31:32], v[9:10]
	;; [unrolled: 3-line block ×6, first 2 shown]
	v_fma_f64 v[51:52], v[27:28], v[3:4], -v[51:52]
	v_fma_f64 v[3:4], v[29:30], v[3:4], v[5:6]
	v_fma_f64 v[53:54], v[31:32], v[7:8], -v[53:54]
	v_fma_f64 v[63:64], v[33:34], v[7:8], v[9:10]
	v_fma_f64 v[55:56], v[35:36], v[11:12], -v[55:56]
	v_fma_f64 v[65:66], v[37:38], v[11:12], v[13:14]
	v_fma_f64 v[57:58], v[39:40], v[15:16], -v[57:58]
	v_fma_f64 v[67:68], v[41:42], v[15:16], v[17:18]
	v_fma_f64 v[59:60], v[43:44], v[19:20], -v[59:60]
	v_fma_f64 v[69:70], v[45:46], v[19:20], v[21:22]
	v_fma_f64 v[61:62], v[47:48], v[23:24], -v[61:62]
	v_fma_f64 v[71:72], v[49:50], v[23:24], v[25:26]
	ds_load_b128 v[6:9], v117
	ds_load_b128 v[10:13], v113
	;; [unrolled: 1-line block ×6, first 2 shown]
	v_lshrrev_b16 v5, 13, v73
	s_waitcnt lgkmcnt(0)
	s_barrier
	buffer_gl0_inv
	v_add_f64 v[30:31], v[6:7], -v[51:52]
	v_add_f64 v[32:33], v[8:9], -v[3:4]
	;; [unrolled: 1-line block ×12, first 2 shown]
	v_subrev_nc_u32_e32 v3, 26, v100
	v_cndmask_b32_e64 v4, 0, 0x680, s0
	v_cmp_gt_u32_e64 s0, 26, v100
	v_lshlrev_b32_e32 v56, 4, v1
	v_lshrrev_b32_e32 v58, 21, v74
	v_lshlrev_b64 v[54:55], 4, v[118:119]
	v_add_nc_u32_e32 v4, 0, v4
	v_cndmask_b32_e64 v3, v3, v102, s0
	v_mul_lo_u16 v64, 0x68, v5
	v_and_b32_e32 v60, 0xffff, v75
	v_mul_lo_u16 v58, 0x68, v58
	v_add3_u32 v59, v4, v56, v107
	v_lshlrev_b32_e32 v1, 1, v3
	v_and_b32_e32 v4, 0xffff, v0
	v_add_co_u32 v0, s0, s4, v54
	v_mad_u32_u24 v60, 0x680, v60, 0
	s_delay_alu instid0(VALU_DEP_4) | instskip(NEXT) | instid1(VALU_DEP_4)
	v_lshlrev_b64 v[56:57], 4, v[1:2]
	v_mad_u32_u24 v65, 0x680, v4, 0
	v_sub_nc_u16 v4, v112, v64
	v_mad_u32_u24 v61, 0x680, v76, 0
	v_mad_u32_u24 v62, 0x680, v77, 0
	v_mad_u32_u24 v63, 0x680, v78, 0
	v_add_co_ci_u32_e64 v1, s0, s5, v55, s0
	v_sub_nc_u16 v58, v110, v58
	v_fma_f64 v[6:7], v[6:7], 2.0, -v[30:31]
	v_fma_f64 v[8:9], v[8:9], 2.0, -v[32:33]
	;; [unrolled: 1-line block ×12, first 2 shown]
	v_add_co_u32 v54, s0, s4, v56
	v_add3_u32 v56, v65, v79, v107
	v_add_co_ci_u32_e64 v55, s0, s5, v57, s0
	v_and_b32_e32 v4, 0xff, v4
	v_add3_u32 v57, v60, v80, v107
	v_add3_u32 v60, v61, v81, v107
	;; [unrolled: 1-line block ×4, first 2 shown]
	v_cmp_lt_u32_e64 s0, 25, v100
	v_lshlrev_b32_e32 v3, 4, v3
	v_and_b32_e32 v5, 0xffff, v5
	ds_store_b128 v59, v[6:9]
	ds_store_b128 v59, v[30:33] offset:832
	ds_store_b128 v56, v[10:13]
	ds_store_b128 v56, v[34:37] offset:832
	;; [unrolled: 2-line block ×6, first 2 shown]
	s_waitcnt lgkmcnt(0)
	s_barrier
	buffer_gl0_inv
	s_clause 0x1
	global_load_b128 v[7:10], v[0:1], off offset:1632
	global_load_b128 v[11:14], v[0:1], off offset:1648
	v_and_b32_e32 v6, 0xffff, v58
	v_lshlrev_b32_e32 v27, 5, v4
	s_clause 0x1
	global_load_b128 v[15:18], v[54:55], off offset:1632
	global_load_b128 v[19:22], v[54:55], off offset:1648
	v_mad_u32_u24 v5, 0x1380, v5, 0
	v_lshlrev_b32_e32 v4, 4, v4
	v_lshlrev_b32_e32 v35, 5, v6
	s_clause 0x3
	global_load_b128 v[23:26], v27, s[4:5] offset:1632
	global_load_b128 v[27:30], v27, s[4:5] offset:1648
	;; [unrolled: 1-line block ×4, first 2 shown]
	ds_load_b128 v[39:42], v103
	ds_load_b128 v[43:46], v101 offset:9984
	ds_load_b128 v[47:50], v255
	ds_load_b128 v[51:54], v101 offset:11232
	ds_load_b128 v[55:58], v101 offset:7488
	;; [unrolled: 1-line block ×5, first 2 shown]
	v_lshlrev_b32_e32 v6, 4, v6
	v_add3_u32 v4, v5, v4, v107
	s_delay_alu instid0(VALU_DEP_2)
	v_add3_u32 v5, 0, v6, v107
	s_waitcnt vmcnt(7) lgkmcnt(7)
	v_mul_f64 v[71:72], v[41:42], v[9:10]
	v_mul_f64 v[9:10], v[39:40], v[9:10]
	s_waitcnt vmcnt(6) lgkmcnt(6)
	v_mul_f64 v[73:74], v[45:46], v[13:14]
	v_mul_f64 v[13:14], v[43:44], v[13:14]
	;; [unrolled: 3-line block ×8, first 2 shown]
	v_fma_f64 v[39:40], v[39:40], v[7:8], -v[71:72]
	v_fma_f64 v[41:42], v[41:42], v[7:8], v[9:10]
	v_fma_f64 v[43:44], v[43:44], v[11:12], -v[73:74]
	v_fma_f64 v[45:46], v[45:46], v[11:12], v[13:14]
	;; [unrolled: 2-line block ×8, first 2 shown]
	v_cndmask_b32_e64 v19, 0, 0x1380, s0
	ds_load_b128 v[7:10], v117
	ds_load_b128 v[11:14], v113
	;; [unrolled: 1-line block ×3, first 2 shown]
	v_lshlrev_b64 v[75:76], 4, v[87:88]
	v_add_nc_u32_e32 v77, 0, v19
	ds_load_b128 v[19:22], v109
	v_lshlrev_b64 v[73:74], 4, v[89:90]
	v_lshlrev_b64 v[71:72], 4, v[91:92]
	s_waitcnt lgkmcnt(0)
	v_add3_u32 v3, v77, v3, v107
	s_barrier
	buffer_gl0_inv
	v_add_co_u32 v99, s0, s4, v71
	s_delay_alu instid0(VALU_DEP_1) | instskip(SKIP_1) | instid1(VALU_DEP_1)
	v_add_co_ci_u32_e64 v104, s0, s5, v72, s0
	v_add_co_u32 v73, s0, s4, v73
	v_add_co_ci_u32_e64 v74, s0, s5, v74, s0
	v_add_f64 v[77:78], v[7:8], v[39:40]
	v_add_co_u32 v75, s0, s4, v75
	v_add_f64 v[37:38], v[39:40], v[43:44]
	v_add_f64 v[57:58], v[41:42], v[45:46]
	v_add_f64 v[79:80], v[41:42], -v[45:46]
	v_add_f64 v[59:60], v[47:48], v[51:52]
	v_add_f64 v[61:62], v[49:50], v[53:54]
	;; [unrolled: 1-line block ×3, first 2 shown]
	v_add_f64 v[39:40], v[39:40], -v[43:44]
	v_add_f64 v[63:64], v[55:56], v[25:26]
	v_add_f64 v[65:66], v[23:24], v[27:28]
	;; [unrolled: 1-line block ×7, first 2 shown]
	v_add_f64 v[83:84], v[49:50], -v[53:54]
	v_add_f64 v[49:50], v[13:14], v[49:50]
	v_add_f64 v[89:90], v[19:20], v[29:30]
	v_add_f64 v[47:48], v[47:48], -v[51:52]
	v_add_f64 v[91:92], v[21:22], v[31:32]
	v_add_f64 v[93:94], v[23:24], -v[27:28]
	v_add_f64 v[55:56], v[55:56], -v[25:26]
	;; [unrolled: 1-line block ×4, first 2 shown]
	v_add_co_ci_u32_e64 v76, s0, s5, v76, s0
	v_add_co_u32 v71, s0, 0x1360, v0
	s_delay_alu instid0(VALU_DEP_1) | instskip(SKIP_1) | instid1(VALU_DEP_1)
	v_add_co_ci_u32_e64 v72, s0, 0, v1, s0
	v_add_co_u32 v0, s0, 0x1000, v0
	v_add_co_ci_u32_e64 v1, s0, 0, v1, s0
	v_fma_f64 v[37:38], v[37:38], -0.5, v[7:8]
	v_fma_f64 v[57:58], v[57:58], -0.5, v[9:10]
	v_add_f64 v[7:8], v[77:78], v[43:44]
	v_fma_f64 v[59:60], v[59:60], -0.5, v[11:12]
	v_fma_f64 v[61:62], v[61:62], -0.5, v[13:14]
	v_add_f64 v[9:10], v[41:42], v[45:46]
	;; [unrolled: 3-line block ×3, first 2 shown]
	v_add_f64 v[17:18], v[87:88], v[27:28]
	v_fma_f64 v[67:68], v[67:68], -0.5, v[19:20]
	v_fma_f64 v[69:70], v[69:70], -0.5, v[21:22]
	v_add_f64 v[11:12], v[81:82], v[51:52]
	v_add_f64 v[13:14], v[49:50], v[53:54]
	;; [unrolled: 1-line block ×4, first 2 shown]
	v_fma_f64 v[23:24], v[79:80], s[2:3], v[37:38]
	v_fma_f64 v[25:26], v[39:40], s[6:7], v[57:58]
	;; [unrolled: 1-line block ×16, first 2 shown]
	v_add_co_u32 v55, s0, 0x1360, v99
	s_delay_alu instid0(VALU_DEP_1) | instskip(SKIP_1) | instid1(VALU_DEP_1)
	v_add_co_ci_u32_e64 v56, s0, 0, v104, s0
	v_add_co_u32 v57, s0, 0x1000, v99
	v_add_co_ci_u32_e64 v58, s0, 0, v104, s0
	v_add_co_u32 v59, s0, 0x1360, v73
	s_delay_alu instid0(VALU_DEP_1) | instskip(SKIP_1) | instid1(VALU_DEP_1)
	v_add_co_ci_u32_e64 v60, s0, 0, v74, s0
	v_add_co_u32 v61, s0, 0x1000, v73
	v_add_co_ci_u32_e64 v62, s0, 0, v74, s0
	ds_store_b128 v101, v[7:10]
	ds_store_b128 v101, v[23:26] offset:1664
	ds_store_b128 v101, v[27:30] offset:3328
	ds_store_b128 v3, v[11:14]
	ds_store_b128 v3, v[31:34] offset:1664
	ds_store_b128 v3, v[35:38] offset:3328
	;; [unrolled: 3-line block ×3, first 2 shown]
	ds_store_b128 v5, v[19:22] offset:9984
	ds_store_b128 v5, v[47:50] offset:11648
	;; [unrolled: 1-line block ×3, first 2 shown]
	s_waitcnt lgkmcnt(0)
	s_barrier
	buffer_gl0_inv
	global_load_b128 v[3:6], v[0:1], off offset:864
	v_add_co_u32 v0, s0, 0x1000, v75
	s_delay_alu instid0(VALU_DEP_1)
	v_add_co_ci_u32_e64 v1, s0, 0, v76, s0
	s_clause 0x3
	global_load_b128 v[7:10], v[71:72], off offset:16
	global_load_b128 v[11:14], v[57:58], off offset:864
	;; [unrolled: 1-line block ×4, first 2 shown]
	v_add_co_u32 v31, s0, 0x1360, v75
	s_delay_alu instid0(VALU_DEP_1)
	v_add_co_ci_u32_e64 v32, s0, 0, v76, s0
	s_clause 0x2
	global_load_b128 v[23:26], v[59:60], off offset:16
	global_load_b128 v[27:30], v[0:1], off offset:864
	;; [unrolled: 1-line block ×3, first 2 shown]
	ds_load_b128 v[35:38], v103
	ds_load_b128 v[39:42], v101 offset:9984
	ds_load_b128 v[43:46], v255
	ds_load_b128 v[47:50], v101 offset:11232
	ds_load_b128 v[51:54], v101 offset:7488
	;; [unrolled: 1-line block ×5, first 2 shown]
	s_waitcnt vmcnt(7) lgkmcnt(7)
	v_mul_f64 v[0:1], v[37:38], v[5:6]
	v_mul_f64 v[5:6], v[35:36], v[5:6]
	s_waitcnt vmcnt(6) lgkmcnt(6)
	v_mul_f64 v[67:68], v[41:42], v[9:10]
	v_mul_f64 v[9:10], v[39:40], v[9:10]
	;; [unrolled: 3-line block ×8, first 2 shown]
	v_fma_f64 v[0:1], v[35:36], v[3:4], -v[0:1]
	v_fma_f64 v[35:36], v[37:38], v[3:4], v[5:6]
	v_fma_f64 v[37:38], v[39:40], v[7:8], -v[67:68]
	v_fma_f64 v[39:40], v[41:42], v[7:8], v[9:10]
	;; [unrolled: 2-line block ×8, first 2 shown]
	ds_load_b128 v[3:6], v117
	ds_load_b128 v[7:10], v113
	;; [unrolled: 1-line block ×4, first 2 shown]
	s_waitcnt lgkmcnt(0)
	s_barrier
	buffer_gl0_inv
	v_add_f64 v[65:66], v[3:4], v[0:1]
	v_add_f64 v[33:34], v[0:1], v[37:38]
	;; [unrolled: 1-line block ×3, first 2 shown]
	v_add_f64 v[67:68], v[35:36], -v[39:40]
	v_add_f64 v[35:36], v[5:6], v[35:36]
	v_add_f64 v[53:54], v[41:42], v[45:46]
	;; [unrolled: 1-line block ×4, first 2 shown]
	v_add_f64 v[0:1], v[0:1], -v[37:38]
	v_add_f64 v[57:58], v[49:50], v[21:22]
	v_add_f64 v[59:60], v[19:20], v[23:24]
	;; [unrolled: 1-line block ×8, first 2 shown]
	v_add_f64 v[43:44], v[43:44], -v[47:48]
	v_add_f64 v[41:42], v[41:42], -v[45:46]
	v_add_f64 v[79:80], v[17:18], v[27:28]
	v_add_f64 v[81:82], v[19:20], -v[23:24]
	v_add_f64 v[49:50], v[49:50], -v[21:22]
	;; [unrolled: 1-line block ×4, first 2 shown]
	v_fma_f64 v[33:34], v[33:34], -0.5, v[3:4]
	v_fma_f64 v[51:52], v[51:52], -0.5, v[5:6]
	v_add_f64 v[3:4], v[65:66], v[37:38]
	v_add_f64 v[5:6], v[35:36], v[39:40]
	v_fma_f64 v[53:54], v[53:54], -0.5, v[7:8]
	v_fma_f64 v[55:56], v[55:56], -0.5, v[9:10]
	;; [unrolled: 1-line block ×4, first 2 shown]
	v_add_f64 v[11:12], v[73:74], v[21:22]
	v_add_f64 v[13:14], v[75:76], v[23:24]
	v_fma_f64 v[61:62], v[61:62], -0.5, v[15:16]
	v_fma_f64 v[63:64], v[63:64], -0.5, v[17:18]
	v_add_f64 v[7:8], v[69:70], v[45:46]
	v_add_f64 v[9:10], v[71:72], v[47:48]
	;; [unrolled: 1-line block ×4, first 2 shown]
	v_fma_f64 v[19:20], v[67:68], s[2:3], v[33:34]
	v_fma_f64 v[21:22], v[0:1], s[6:7], v[51:52]
	;; [unrolled: 1-line block ×16, first 2 shown]
	ds_store_b128 v101, v[3:6]
	ds_store_b128 v101, v[19:22] offset:4992
	ds_store_b128 v101, v[23:26] offset:9984
	ds_store_b128 v113, v[7:10]
	ds_store_b128 v113, v[27:30] offset:4992
	ds_store_b128 v113, v[31:34] offset:9984
	;; [unrolled: 3-line block ×4, first 2 shown]
	s_waitcnt lgkmcnt(0)
	s_barrier
	buffer_gl0_inv
	ds_load_b128 v[4:7], v117
	v_sub_nc_u32_e32 v12, v121, v105
	s_addc_u32 s2, s5, 0
	s_mov_b32 s3, exec_lo
                                        ; implicit-def: $vgpr0_vgpr1
                                        ; implicit-def: $vgpr8_vgpr9
                                        ; implicit-def: $vgpr10_vgpr11
	v_cmpx_ne_u32_e32 0, v100
	s_xor_b32 s3, exec_lo, s3
	s_cbranch_execz .LBB0_18
; %bb.17:
	v_mov_b32_e32 v101, v2
	s_delay_alu instid0(VALU_DEP_1) | instskip(NEXT) | instid1(VALU_DEP_1)
	v_lshlrev_b64 v[0:1], 4, v[100:101]
	v_add_co_u32 v0, s0, s1, v0
	s_delay_alu instid0(VALU_DEP_1)
	v_add_co_ci_u32_e64 v1, s0, s2, v1, s0
	global_load_b128 v[13:16], v[0:1], off
	ds_load_b128 v[0:3], v12 offset:14976
	s_waitcnt lgkmcnt(0)
	v_add_f64 v[8:9], v[4:5], -v[0:1]
	v_add_f64 v[10:11], v[6:7], v[2:3]
	v_add_f64 v[2:3], v[6:7], -v[2:3]
	v_add_f64 v[0:1], v[4:5], v[0:1]
	s_delay_alu instid0(VALU_DEP_4) | instskip(NEXT) | instid1(VALU_DEP_4)
	v_mul_f64 v[6:7], v[8:9], 0.5
	v_mul_f64 v[4:5], v[10:11], 0.5
	s_delay_alu instid0(VALU_DEP_4) | instskip(SKIP_1) | instid1(VALU_DEP_3)
	v_mul_f64 v[2:3], v[2:3], 0.5
	s_waitcnt vmcnt(0)
	v_mul_f64 v[8:9], v[6:7], v[15:16]
	s_delay_alu instid0(VALU_DEP_2) | instskip(SKIP_1) | instid1(VALU_DEP_3)
	v_fma_f64 v[10:11], v[4:5], v[15:16], v[2:3]
	v_fma_f64 v[2:3], v[4:5], v[15:16], -v[2:3]
	v_fma_f64 v[17:18], v[0:1], 0.5, v[8:9]
	v_fma_f64 v[0:1], v[0:1], 0.5, -v[8:9]
	s_delay_alu instid0(VALU_DEP_4) | instskip(NEXT) | instid1(VALU_DEP_4)
	v_fma_f64 v[10:11], -v[13:14], v[6:7], v[10:11]
	v_fma_f64 v[2:3], -v[13:14], v[6:7], v[2:3]
	s_delay_alu instid0(VALU_DEP_4) | instskip(NEXT) | instid1(VALU_DEP_4)
	v_fma_f64 v[8:9], v[4:5], v[13:14], v[17:18]
	v_fma_f64 v[0:1], -v[4:5], v[13:14], v[0:1]
                                        ; implicit-def: $vgpr4_vgpr5
.LBB0_18:
	s_and_not1_saveexec_b32 s0, s3
	s_cbranch_execz .LBB0_20
; %bb.19:
	s_waitcnt lgkmcnt(0)
	v_add_f64 v[8:9], v[4:5], v[6:7]
	v_add_f64 v[0:1], v[4:5], -v[6:7]
	ds_load_b64 v[4:5], v121 offset:7496
	v_mov_b32_e32 v10, 0
	v_mov_b32_e32 v11, 0
	s_delay_alu instid0(VALU_DEP_1)
	v_dual_mov_b32 v2, v10 :: v_dual_mov_b32 v3, v11
	s_waitcnt lgkmcnt(0)
	v_xor_b32_e32 v5, 0x80000000, v5
	ds_store_b64 v121, v[4:5] offset:7496
.LBB0_20:
	s_or_b32 exec_lo, exec_lo, s0
	v_mov_b32_e32 v103, 0
	v_lshl_add_u32 v21, v102, 4, v121
	v_lshl_add_u32 v22, v112, 4, v121
	s_waitcnt lgkmcnt(0)
	s_delay_alu instid0(VALU_DEP_3) | instskip(SKIP_4) | instid1(VALU_DEP_4)
	v_lshlrev_b64 v[4:5], 4, v[102:103]
	v_mov_b32_e32 v113, v103
	v_mov_b32_e32 v111, v103
	;; [unrolled: 1-line block ×4, first 2 shown]
	v_lshlrev_b64 v[13:14], 4, v[112:113]
	v_add_co_u32 v4, s0, s1, v4
	s_delay_alu instid0(VALU_DEP_1) | instskip(NEXT) | instid1(VALU_DEP_3)
	v_add_co_ci_u32_e64 v5, s0, s2, v5, s0
	v_add_co_u32 v13, s0, s1, v13
	global_load_b128 v[4:7], v[4:5], off
	v_add_co_ci_u32_e64 v14, s0, s2, v14, s0
	global_load_b128 v[13:16], v[13:14], off
	ds_store_2addr_b64 v117, v[8:9], v[10:11] offset1:1
	ds_store_b128 v12, v[0:3] offset:14976
	ds_load_b128 v[0:3], v21
	ds_load_b128 v[8:11], v12 offset:13728
	s_waitcnt lgkmcnt(0)
	v_add_f64 v[17:18], v[0:1], -v[8:9]
	v_add_f64 v[19:20], v[2:3], v[10:11]
	v_add_f64 v[2:3], v[2:3], -v[10:11]
	v_add_f64 v[0:1], v[0:1], v[8:9]
	s_delay_alu instid0(VALU_DEP_4) | instskip(NEXT) | instid1(VALU_DEP_4)
	v_mul_f64 v[10:11], v[17:18], 0.5
	v_mul_f64 v[17:18], v[19:20], 0.5
	s_delay_alu instid0(VALU_DEP_4) | instskip(SKIP_1) | instid1(VALU_DEP_3)
	v_mul_f64 v[2:3], v[2:3], 0.5
	s_waitcnt vmcnt(1)
	v_mul_f64 v[8:9], v[10:11], v[6:7]
	s_delay_alu instid0(VALU_DEP_2) | instskip(SKIP_1) | instid1(VALU_DEP_3)
	v_fma_f64 v[19:20], v[17:18], v[6:7], v[2:3]
	v_fma_f64 v[2:3], v[17:18], v[6:7], -v[2:3]
	v_fma_f64 v[6:7], v[0:1], 0.5, v[8:9]
	v_fma_f64 v[0:1], v[0:1], 0.5, -v[8:9]
	s_delay_alu instid0(VALU_DEP_4) | instskip(NEXT) | instid1(VALU_DEP_4)
	v_fma_f64 v[8:9], -v[4:5], v[10:11], v[19:20]
	v_fma_f64 v[2:3], -v[4:5], v[10:11], v[2:3]
	s_delay_alu instid0(VALU_DEP_4) | instskip(NEXT) | instid1(VALU_DEP_4)
	v_fma_f64 v[10:11], v[17:18], v[4:5], v[6:7]
	v_fma_f64 v[0:1], -v[17:18], v[4:5], v[0:1]
	v_lshlrev_b64 v[4:5], 4, v[110:111]
	s_delay_alu instid0(VALU_DEP_1) | instskip(NEXT) | instid1(VALU_DEP_1)
	v_add_co_u32 v4, s0, s1, v4
	v_add_co_ci_u32_e64 v5, s0, s2, v5, s0
	global_load_b128 v[4:7], v[4:5], off
	ds_store_2addr_b64 v21, v[10:11], v[8:9] offset1:1
	ds_store_b128 v12, v[0:3] offset:13728
	ds_load_b128 v[0:3], v22
	ds_load_b128 v[8:11], v12 offset:12480
	v_lshl_add_u32 v21, v110, 4, v121
	s_waitcnt lgkmcnt(0)
	v_add_f64 v[17:18], v[0:1], -v[8:9]
	v_add_f64 v[19:20], v[2:3], v[10:11]
	v_add_f64 v[2:3], v[2:3], -v[10:11]
	v_add_f64 v[0:1], v[0:1], v[8:9]
	s_delay_alu instid0(VALU_DEP_4) | instskip(NEXT) | instid1(VALU_DEP_4)
	v_mul_f64 v[10:11], v[17:18], 0.5
	v_mul_f64 v[17:18], v[19:20], 0.5
	s_delay_alu instid0(VALU_DEP_4) | instskip(SKIP_1) | instid1(VALU_DEP_3)
	v_mul_f64 v[2:3], v[2:3], 0.5
	s_waitcnt vmcnt(1)
	v_mul_f64 v[8:9], v[10:11], v[15:16]
	s_delay_alu instid0(VALU_DEP_2) | instskip(SKIP_1) | instid1(VALU_DEP_3)
	v_fma_f64 v[19:20], v[17:18], v[15:16], v[2:3]
	v_fma_f64 v[2:3], v[17:18], v[15:16], -v[2:3]
	v_fma_f64 v[15:16], v[0:1], 0.5, v[8:9]
	v_fma_f64 v[0:1], v[0:1], 0.5, -v[8:9]
	s_delay_alu instid0(VALU_DEP_4) | instskip(NEXT) | instid1(VALU_DEP_4)
	v_fma_f64 v[19:20], -v[13:14], v[10:11], v[19:20]
	v_fma_f64 v[2:3], -v[13:14], v[10:11], v[2:3]
	v_lshlrev_b64 v[8:9], 4, v[108:109]
	s_delay_alu instid0(VALU_DEP_1) | instskip(NEXT) | instid1(VALU_DEP_1)
	v_add_co_u32 v8, s0, s1, v8
	v_add_co_ci_u32_e64 v9, s0, s2, v9, s0
	global_load_b128 v[8:11], v[8:9], off
	v_fma_f64 v[15:16], v[17:18], v[13:14], v[15:16]
	v_fma_f64 v[0:1], -v[17:18], v[13:14], v[0:1]
	ds_store_2addr_b64 v22, v[15:16], v[19:20] offset1:1
	ds_store_b128 v12, v[0:3] offset:12480
	ds_load_b128 v[0:3], v21
	ds_load_b128 v[13:16], v12 offset:11232
	v_lshl_add_u32 v22, v108, 4, v121
	s_waitcnt lgkmcnt(0)
	v_add_f64 v[17:18], v[0:1], -v[13:14]
	v_add_f64 v[19:20], v[2:3], v[15:16]
	v_add_f64 v[2:3], v[2:3], -v[15:16]
	v_add_f64 v[0:1], v[0:1], v[13:14]
	s_delay_alu instid0(VALU_DEP_4) | instskip(NEXT) | instid1(VALU_DEP_4)
	v_mul_f64 v[15:16], v[17:18], 0.5
	v_mul_f64 v[17:18], v[19:20], 0.5
	s_delay_alu instid0(VALU_DEP_4) | instskip(SKIP_1) | instid1(VALU_DEP_3)
	v_mul_f64 v[2:3], v[2:3], 0.5
	s_waitcnt vmcnt(1)
	v_mul_f64 v[13:14], v[15:16], v[6:7]
	s_delay_alu instid0(VALU_DEP_2) | instskip(SKIP_1) | instid1(VALU_DEP_3)
	v_fma_f64 v[19:20], v[17:18], v[6:7], v[2:3]
	v_fma_f64 v[2:3], v[17:18], v[6:7], -v[2:3]
	v_fma_f64 v[6:7], v[0:1], 0.5, v[13:14]
	v_fma_f64 v[0:1], v[0:1], 0.5, -v[13:14]
	s_delay_alu instid0(VALU_DEP_4) | instskip(NEXT) | instid1(VALU_DEP_4)
	v_fma_f64 v[13:14], -v[4:5], v[15:16], v[19:20]
	v_fma_f64 v[2:3], -v[4:5], v[15:16], v[2:3]
	s_delay_alu instid0(VALU_DEP_4) | instskip(NEXT) | instid1(VALU_DEP_4)
	v_fma_f64 v[15:16], v[17:18], v[4:5], v[6:7]
	v_fma_f64 v[0:1], -v[17:18], v[4:5], v[0:1]
	v_lshlrev_b64 v[4:5], 4, v[106:107]
	s_delay_alu instid0(VALU_DEP_1) | instskip(NEXT) | instid1(VALU_DEP_1)
	v_add_co_u32 v4, s0, s1, v4
	v_add_co_ci_u32_e64 v5, s0, s2, v5, s0
	global_load_b128 v[4:7], v[4:5], off
	ds_store_2addr_b64 v21, v[15:16], v[13:14] offset1:1
	ds_store_b128 v12, v[0:3] offset:11232
	ds_load_b128 v[0:3], v22
	ds_load_b128 v[13:16], v12 offset:9984
	s_waitcnt lgkmcnt(0)
	v_add_f64 v[17:18], v[0:1], -v[13:14]
	v_add_f64 v[19:20], v[2:3], v[15:16]
	v_add_f64 v[2:3], v[2:3], -v[15:16]
	v_add_f64 v[0:1], v[0:1], v[13:14]
	s_delay_alu instid0(VALU_DEP_4) | instskip(NEXT) | instid1(VALU_DEP_4)
	v_mul_f64 v[15:16], v[17:18], 0.5
	v_mul_f64 v[17:18], v[19:20], 0.5
	s_delay_alu instid0(VALU_DEP_4) | instskip(SKIP_1) | instid1(VALU_DEP_3)
	v_mul_f64 v[2:3], v[2:3], 0.5
	s_waitcnt vmcnt(1)
	v_mul_f64 v[13:14], v[15:16], v[10:11]
	s_delay_alu instid0(VALU_DEP_2) | instskip(SKIP_1) | instid1(VALU_DEP_3)
	v_fma_f64 v[19:20], v[17:18], v[10:11], v[2:3]
	v_fma_f64 v[2:3], v[17:18], v[10:11], -v[2:3]
	v_fma_f64 v[10:11], v[0:1], 0.5, v[13:14]
	v_fma_f64 v[0:1], v[0:1], 0.5, -v[13:14]
	s_delay_alu instid0(VALU_DEP_4) | instskip(NEXT) | instid1(VALU_DEP_4)
	v_fma_f64 v[13:14], -v[8:9], v[15:16], v[19:20]
	v_fma_f64 v[2:3], -v[8:9], v[15:16], v[2:3]
	s_delay_alu instid0(VALU_DEP_4) | instskip(NEXT) | instid1(VALU_DEP_4)
	v_fma_f64 v[10:11], v[17:18], v[8:9], v[10:11]
	v_fma_f64 v[0:1], -v[17:18], v[8:9], v[0:1]
	v_lshl_add_u32 v17, v106, 4, v121
	ds_store_2addr_b64 v22, v[10:11], v[13:14] offset1:1
	ds_store_b128 v12, v[0:3] offset:9984
	ds_load_b128 v[0:3], v17
	ds_load_b128 v[8:11], v12 offset:8736
	s_waitcnt lgkmcnt(0)
	v_add_f64 v[13:14], v[0:1], -v[8:9]
	v_add_f64 v[15:16], v[2:3], v[10:11]
	v_add_f64 v[2:3], v[2:3], -v[10:11]
	v_add_f64 v[0:1], v[0:1], v[8:9]
	s_delay_alu instid0(VALU_DEP_4) | instskip(NEXT) | instid1(VALU_DEP_4)
	v_mul_f64 v[10:11], v[13:14], 0.5
	v_mul_f64 v[13:14], v[15:16], 0.5
	s_delay_alu instid0(VALU_DEP_4) | instskip(SKIP_1) | instid1(VALU_DEP_3)
	v_mul_f64 v[2:3], v[2:3], 0.5
	s_waitcnt vmcnt(0)
	v_mul_f64 v[8:9], v[10:11], v[6:7]
	s_delay_alu instid0(VALU_DEP_2) | instskip(SKIP_1) | instid1(VALU_DEP_3)
	v_fma_f64 v[15:16], v[13:14], v[6:7], v[2:3]
	v_fma_f64 v[2:3], v[13:14], v[6:7], -v[2:3]
	v_fma_f64 v[6:7], v[0:1], 0.5, v[8:9]
	v_fma_f64 v[0:1], v[0:1], 0.5, -v[8:9]
	s_delay_alu instid0(VALU_DEP_4) | instskip(NEXT) | instid1(VALU_DEP_4)
	v_fma_f64 v[8:9], -v[4:5], v[10:11], v[15:16]
	v_fma_f64 v[2:3], -v[4:5], v[10:11], v[2:3]
	s_delay_alu instid0(VALU_DEP_4) | instskip(NEXT) | instid1(VALU_DEP_4)
	v_fma_f64 v[6:7], v[13:14], v[4:5], v[6:7]
	v_fma_f64 v[0:1], -v[13:14], v[4:5], v[0:1]
	ds_store_2addr_b64 v17, v[6:7], v[8:9] offset1:1
	ds_store_b128 v12, v[0:3] offset:8736
	s_waitcnt lgkmcnt(0)
	s_barrier
	buffer_gl0_inv
	s_and_saveexec_b32 s0, vcc_lo
	s_cbranch_execz .LBB0_23
; %bb.21:
	v_mov_b32_e32 v101, v103
	ds_load_b128 v[2:5], v117
	ds_load_b128 v[6:9], v117 offset:1248
	ds_load_b128 v[10:13], v117 offset:2496
	;; [unrolled: 1-line block ×5, first 2 shown]
	v_add_co_u32 v0, vcc_lo, s8, v114
	v_add_co_ci_u32_e32 v1, vcc_lo, s9, v115, vcc_lo
	v_lshlrev_b64 v[26:27], 4, v[100:101]
	s_delay_alu instid0(VALU_DEP_1) | instskip(NEXT) | instid1(VALU_DEP_2)
	v_add_co_u32 v50, vcc_lo, v0, v26
	v_add_co_ci_u32_e32 v51, vcc_lo, v1, v27, vcc_lo
	ds_load_b128 v[26:29], v117 offset:7488
	ds_load_b128 v[30:33], v117 offset:8736
	;; [unrolled: 1-line block ×6, first 2 shown]
	v_add_co_u32 v52, vcc_lo, 0x1000, v50
	v_add_co_ci_u32_e32 v53, vcc_lo, 0, v51, vcc_lo
	s_waitcnt lgkmcnt(11)
	global_store_b128 v[50:51], v[2:5], off
	s_waitcnt lgkmcnt(10)
	global_store_b128 v[50:51], v[6:9], off offset:1248
	s_waitcnt lgkmcnt(9)
	global_store_b128 v[50:51], v[10:13], off offset:2496
	;; [unrolled: 2-line block ×5, first 2 shown]
	v_add_co_u32 v2, vcc_lo, 0x2000, v50
	v_add_co_ci_u32_e32 v3, vcc_lo, 0, v51, vcc_lo
	v_add_co_u32 v4, vcc_lo, 0x3000, v50
	v_add_co_ci_u32_e32 v5, vcc_lo, 0, v51, vcc_lo
	v_cmp_eq_u32_e32 vcc_lo, 0x4d, v100
	s_waitcnt lgkmcnt(5)
	global_store_b128 v[52:53], v[26:29], off offset:3392
	s_waitcnt lgkmcnt(4)
	global_store_b128 v[2:3], v[30:33], off offset:544
	;; [unrolled: 2-line block ×6, first 2 shown]
	s_and_b32 exec_lo, exec_lo, vcc_lo
	s_cbranch_execz .LBB0_23
; %bb.22:
	ds_load_b128 v[2:5], v117 offset:13744
	v_add_co_u32 v0, vcc_lo, 0x3000, v0
	v_add_co_ci_u32_e32 v1, vcc_lo, 0, v1, vcc_lo
	s_waitcnt lgkmcnt(0)
	global_store_b128 v[0:1], v[2:5], off offset:2688
.LBB0_23:
	s_nop 0
	s_sendmsg sendmsg(MSG_DEALLOC_VGPRS)
	s_endpgm
	.section	.rodata,"a",@progbits
	.p2align	6, 0x0
	.amdhsa_kernel fft_rtc_fwd_len936_factors_2_2_13_2_3_3_wgs_234_tpt_78_halfLds_dp_ip_CI_unitstride_sbrr_R2C_dirReg
		.amdhsa_group_segment_fixed_size 0
		.amdhsa_private_segment_fixed_size 52
		.amdhsa_kernarg_size 88
		.amdhsa_user_sgpr_count 15
		.amdhsa_user_sgpr_dispatch_ptr 0
		.amdhsa_user_sgpr_queue_ptr 0
		.amdhsa_user_sgpr_kernarg_segment_ptr 1
		.amdhsa_user_sgpr_dispatch_id 0
		.amdhsa_user_sgpr_private_segment_size 0
		.amdhsa_wavefront_size32 1
		.amdhsa_uses_dynamic_stack 0
		.amdhsa_enable_private_segment 1
		.amdhsa_system_sgpr_workgroup_id_x 1
		.amdhsa_system_sgpr_workgroup_id_y 0
		.amdhsa_system_sgpr_workgroup_id_z 0
		.amdhsa_system_sgpr_workgroup_info 0
		.amdhsa_system_vgpr_workitem_id 0
		.amdhsa_next_free_vgpr 256
		.amdhsa_next_free_sgpr 42
		.amdhsa_reserve_vcc 1
		.amdhsa_float_round_mode_32 0
		.amdhsa_float_round_mode_16_64 0
		.amdhsa_float_denorm_mode_32 3
		.amdhsa_float_denorm_mode_16_64 3
		.amdhsa_dx10_clamp 1
		.amdhsa_ieee_mode 1
		.amdhsa_fp16_overflow 0
		.amdhsa_workgroup_processor_mode 1
		.amdhsa_memory_ordered 1
		.amdhsa_forward_progress 0
		.amdhsa_shared_vgpr_count 0
		.amdhsa_exception_fp_ieee_invalid_op 0
		.amdhsa_exception_fp_denorm_src 0
		.amdhsa_exception_fp_ieee_div_zero 0
		.amdhsa_exception_fp_ieee_overflow 0
		.amdhsa_exception_fp_ieee_underflow 0
		.amdhsa_exception_fp_ieee_inexact 0
		.amdhsa_exception_int_div_zero 0
	.end_amdhsa_kernel
	.text
.Lfunc_end0:
	.size	fft_rtc_fwd_len936_factors_2_2_13_2_3_3_wgs_234_tpt_78_halfLds_dp_ip_CI_unitstride_sbrr_R2C_dirReg, .Lfunc_end0-fft_rtc_fwd_len936_factors_2_2_13_2_3_3_wgs_234_tpt_78_halfLds_dp_ip_CI_unitstride_sbrr_R2C_dirReg
                                        ; -- End function
	.section	.AMDGPU.csdata,"",@progbits
; Kernel info:
; codeLenInByte = 13460
; NumSgprs: 44
; NumVgprs: 256
; ScratchSize: 52
; MemoryBound: 0
; FloatMode: 240
; IeeeMode: 1
; LDSByteSize: 0 bytes/workgroup (compile time only)
; SGPRBlocks: 5
; VGPRBlocks: 31
; NumSGPRsForWavesPerEU: 44
; NumVGPRsForWavesPerEU: 256
; Occupancy: 5
; WaveLimiterHint : 1
; COMPUTE_PGM_RSRC2:SCRATCH_EN: 1
; COMPUTE_PGM_RSRC2:USER_SGPR: 15
; COMPUTE_PGM_RSRC2:TRAP_HANDLER: 0
; COMPUTE_PGM_RSRC2:TGID_X_EN: 1
; COMPUTE_PGM_RSRC2:TGID_Y_EN: 0
; COMPUTE_PGM_RSRC2:TGID_Z_EN: 0
; COMPUTE_PGM_RSRC2:TIDIG_COMP_CNT: 0
	.text
	.p2alignl 7, 3214868480
	.fill 96, 4, 3214868480
	.type	__hip_cuid_a79299a68ef6d272,@object ; @__hip_cuid_a79299a68ef6d272
	.section	.bss,"aw",@nobits
	.globl	__hip_cuid_a79299a68ef6d272
__hip_cuid_a79299a68ef6d272:
	.byte	0                               ; 0x0
	.size	__hip_cuid_a79299a68ef6d272, 1

	.ident	"AMD clang version 19.0.0git (https://github.com/RadeonOpenCompute/llvm-project roc-6.4.0 25133 c7fe45cf4b819c5991fe208aaa96edf142730f1d)"
	.section	".note.GNU-stack","",@progbits
	.addrsig
	.addrsig_sym __hip_cuid_a79299a68ef6d272
	.amdgpu_metadata
---
amdhsa.kernels:
  - .args:
      - .actual_access:  read_only
        .address_space:  global
        .offset:         0
        .size:           8
        .value_kind:     global_buffer
      - .offset:         8
        .size:           8
        .value_kind:     by_value
      - .actual_access:  read_only
        .address_space:  global
        .offset:         16
        .size:           8
        .value_kind:     global_buffer
      - .actual_access:  read_only
        .address_space:  global
        .offset:         24
        .size:           8
        .value_kind:     global_buffer
      - .offset:         32
        .size:           8
        .value_kind:     by_value
      - .actual_access:  read_only
        .address_space:  global
        .offset:         40
        .size:           8
        .value_kind:     global_buffer
      - .actual_access:  read_only
        .address_space:  global
        .offset:         48
        .size:           8
        .value_kind:     global_buffer
      - .offset:         56
        .size:           4
        .value_kind:     by_value
      - .actual_access:  read_only
        .address_space:  global
        .offset:         64
        .size:           8
        .value_kind:     global_buffer
      - .actual_access:  read_only
        .address_space:  global
        .offset:         72
        .size:           8
        .value_kind:     global_buffer
      - .address_space:  global
        .offset:         80
        .size:           8
        .value_kind:     global_buffer
    .group_segment_fixed_size: 0
    .kernarg_segment_align: 8
    .kernarg_segment_size: 88
    .language:       OpenCL C
    .language_version:
      - 2
      - 0
    .max_flat_workgroup_size: 234
    .name:           fft_rtc_fwd_len936_factors_2_2_13_2_3_3_wgs_234_tpt_78_halfLds_dp_ip_CI_unitstride_sbrr_R2C_dirReg
    .private_segment_fixed_size: 52
    .sgpr_count:     44
    .sgpr_spill_count: 0
    .symbol:         fft_rtc_fwd_len936_factors_2_2_13_2_3_3_wgs_234_tpt_78_halfLds_dp_ip_CI_unitstride_sbrr_R2C_dirReg.kd
    .uniform_work_group_size: 1
    .uses_dynamic_stack: false
    .vgpr_count:     256
    .vgpr_spill_count: 12
    .wavefront_size: 32
    .workgroup_processor_mode: 1
amdhsa.target:   amdgcn-amd-amdhsa--gfx1100
amdhsa.version:
  - 1
  - 2
...

	.end_amdgpu_metadata
